;; amdgpu-corpus repo=ROCm/aiter kind=harvested arch=n/a opt=n/a

/root/src/amdgpu-assembly/repos/ROCm__aiter/hsa/gfx942/fmha_v3_fwd/MI308/fwd_hd128_bf16_rtne_group.co:	file format elf64-amdgpu

Disassembly of section .text:

0000000000003300 <_ZN5aiter30fmha_fwd_hd128_bf16_rtne_groupE>:
	s_and_b32 s1, s1, 0xffff                                   // 000000003300: 8601FF01 0000FFFF
	s_load_dwordx2 s[20:21], s[0:1], 0x0                       // 000000003308: C0060500 00000000
	s_load_dwordx2 s[8:9], s[0:1], 0x10                        // 000000003310: C0060200 00000010
	s_load_dwordx2 s[12:13], s[0:1], 0x20                      // 000000003318: C0060300 00000020
	s_load_dwordx2 s[16:17], s[0:1], 0x30                      // 000000003320: C0060400 00000030
	s_load_dwordx2 s[24:25], s[0:1], 0x40                      // 000000003328: C0060600 00000040
	s_load_dword s28, s[0:1], 0x50                             // 000000003330: C0020700 00000050
	s_load_dword s30, s[0:1], 0x60                             // 000000003338: C0020780 00000060
	s_load_dword s62, s[0:1], 0x70                             // 000000003340: C0020F80 00000070
	s_load_dword s31, s[0:1], 0x80                             // 000000003348: C00207C0 00000080
	s_load_dword s32, s[0:1], 0x90                             // 000000003350: C0020800 00000090
	s_load_dword s33, s[0:1], 0xa0                             // 000000003358: C0020840 000000A0
	s_load_dword s46, s[0:1], 0xb0                             // 000000003360: C0020B80 000000B0
	s_load_dword s61, s[0:1], 0xc0                             // 000000003368: C0020F40 000000C0
	s_load_dword s47, s[0:1], 0xd0                             // 000000003370: C0020BC0 000000D0
	s_load_dword s48, s[0:1], 0xe0                             // 000000003378: C0020C00 000000E0
	s_load_dword s34, s[0:1], 0xf0                             // 000000003380: C0020880 000000F0
	s_load_dword s37, s[0:1], 0x100                            // 000000003388: C0020940 00000100
	s_load_dword s7, s[0:1], 0x110                             // 000000003390: C00201C0 00000110
	s_load_dword s96, s[0:1], 0x140                            // 000000003398: C0021800 00000140
	s_load_dword s80, s[0:1], 0x150                            // 0000000033A0: C0021400 00000150
	s_load_dword s81, s[0:1], 0x160                            // 0000000033A8: C0021440 00000160
	s_load_dword s82, s[0:1], 0x170                            // 0000000033B0: C0021480 00000170
	s_load_dword s83, s[0:1], 0x180                            // 0000000033B8: C00214C0 00000180
	s_load_dword s84, s[0:1], 0x190                            // 0000000033C0: C0021500 00000190
	s_load_dword s85, s[0:1], 0x1a0                            // 0000000033C8: C0021540 000001A0
	s_load_dwordx2 s[76:77], s[0:1], 0x1b0                     // 0000000033D0: C0061300 000001B0
	s_load_dwordx2 s[78:79], s[0:1], 0x1c0                     // 0000000033D8: C0061380 000001C0
	s_load_dword s86, s[0:1], 0x1d0                            // 0000000033E0: C0021580 000001D0
	s_load_dwordx2 s[88:89], s[0:1], 0x1e0                     // 0000000033E8: C0061600 000001E0
	s_load_dwordx2 s[90:91], s[0:1], 0x1f0                     // 0000000033F0: C0061680 000001F0
	v_lshrrev_b32_e32 v1, 10, v0                               // 0000000033F8: 2002008A
	v_lshrrev_b32_e32 v2, 10, v1                               // 0000000033FC: 2004028A
	v_and_b32_e32 v2, 0x3ff, v2                                // 000000003400: 260404FF 000003FF
	v_and_b32_e32 v1, 0x3ff, v1                                // 000000003408: 260202FF 000003FF
	v_and_b32_e32 v0, 0x3ff, v0                                // 000000003410: 260000FF 000003FF
	v_lshrrev_b32_e32 v3, 6, v0                                // 000000003418: 20060086
	v_and_b32_e32 v0, 63, v0                                   // 00000000341C: 260000BF
	s_mov_b32 s2, s2                                           // 000000003420: BE820002
	s_mov_b32 s3, s3                                           // 000000003424: BE830003
	s_mov_b32 s4, s4                                           // 000000003428: BE840004
	v_readfirstlane_b32 s5, v3                                 // 00000000342C: 7E0A0503
	s_waitcnt lgkmcnt(0)                                       // 000000003430: BF8CC07F
	s_and_b32 s34, s34, 1                                      // 000000003434: 86228122
	s_nop 1                                                    // 000000003438: BF800001
	s_and_b32 s77, s77, 0xffff                                 // 00000000343C: 864DFF4D 0000FFFF
	s_and_b32 s79, s79, 0xffff                                 // 000000003444: 864FFF4F 0000FFFF
	s_and_b32 s89, s89, 0xffff                                 // 00000000344C: 8659FF59 0000FFFF
	s_and_b32 s91, s91, 0xffff                                 // 000000003454: 865BFF5B 0000FFFF
	s_mul_i32 s40, s3, 4                                       // 00000000345C: 92288403
	s_load_dword s92, s[88:89], s40                            // 000000003460: C000172C 00000028
	s_load_dword s93, s[90:91], s40                            // 000000003468: C000176D 00000028
	s_load_dword s41, s[76:77], s40                            // 000000003470: C0000A66 00000028
	s_load_dword s42, s[78:79], s40                            // 000000003478: C0000AA7 00000028
	s_add_u32 s40, s40, 4                                      // 000000003480: 80288428
	s_load_dword s94, s[76:77], s40                            // 000000003484: C00017A6 00000028
	s_load_dword s95, s[78:79], s40                            // 00000000348C: C00017E7 00000028
	s_waitcnt lgkmcnt(0)                                       // 000000003494: BF8CC07F
	s_sub_u32 s30, s94, s41                                    // 000000003498: 809E295E
	s_sub_u32 s7, s95, s42                                     // 00000000349C: 80872A5F
	s_add_i32 s40, s30, 0xff                                   // 0000000034A0: 8128FF1E 000000FF
	s_lshr_b32 s40, s40, 8                                     // 0000000034A8: 8F288828
	s_cmp_lt_i32 s4, s40                                       // 0000000034AC: BF042804
	s_cbranch_scc0 label_117A                                  // 0000000034B0: BF84110D
	s_mul_i32 s40, s30, s62                                    // 0000000034B4: 92283E1E
	s_mov_b32 s10, s40                                         // 0000000034B8: BE8A0028
	s_mul_i32 s40, s30, s83                                    // 0000000034BC: 9228531E
	s_mov_b32 s22, s40                                         // 0000000034C0: BE960028
	s_mul_i32 s40, s7, s61                                     // 0000000034C4: 92283D07
	s_mov_b32 s14, s40                                         // 0000000034C8: BE8E0028
	s_mul_i32 s40, s7, s80                                     // 0000000034CC: 92285007
	s_mov_b32 s18, s40                                         // 0000000034D0: BE920028
	s_mul_i32 s40, s30, 4                                      // 0000000034D4: 9228841E
	s_mov_b32 s26, s40                                         // 0000000034D8: BE9A0028
	s_mov_b32 s23, 0x20000                                     // 0000000034DC: BE9700FF 00020000
	s_mov_b32 s11, 0x20000                                     // 0000000034E4: BE8B00FF 00020000
	s_mov_b32 s15, 0x20000                                     // 0000000034EC: BE8F00FF 00020000
	s_mov_b32 s19, 0x20000                                     // 0000000034F4: BE9300FF 00020000
	s_mov_b32 s27, 0x20000                                     // 0000000034FC: BE9B00FF 00020000
	s_and_b32 s21, s21, 0xffff                                 // 000000003504: 8615FF15 0000FFFF
	s_and_b32 s9, s9, 0xffff                                   // 00000000350C: 8609FF09 0000FFFF
	s_and_b32 s13, s13, 0xffff                                 // 000000003514: 860DFF0D 0000FFFF
	s_and_b32 s17, s17, 0xffff                                 // 00000000351C: 8611FF11 0000FFFF
	s_and_b32 s25, s25, 0xffff                                 // 000000003524: 8619FF19 0000FFFF
	s_nop 0                                                    // 00000000352C: BF800000
	s_nop 0                                                    // 000000003530: BF800000
	s_mov_b32 s64, s2                                          // 000000003534: BEC00002
	s_mov_b32 s65, s46                                         // 000000003538: BEC1002E
	v_cvt_f32_u32_e32 v16, s65                                 // 00000000353C: 7E200C41
	s_sub_i32 s40, 0, s65                                      // 000000003540: 81A84180
	v_rcp_iflag_f32_e32 v16, v16                               // 000000003544: 7E204710
	s_nop 0                                                    // 000000003548: BF800000
	v_mul_f32_e32 v16, 0x4f7ffffe, v16                         // 00000000354C: 0A2020FF 4F7FFFFE
	v_cvt_u32_f32_e32 v16, v16                                 // 000000003554: 7E200F10
	v_mul_lo_u32 v17, s40, v16                                 // 000000003558: D2850011 00022028
	v_mul_hi_u32 v17, v16, v17                                 // 000000003560: D2860011 00022310
	v_add_u32_e32 v16, v16, v17                                // 000000003568: 68202310
	v_mul_hi_u32 v16, s64, v16                                 // 00000000356C: D2860010 00022040
	v_mul_lo_u32 v17, v16, s65                                 // 000000003574: D2850011 00008310
	v_sub_u32_e32 v19, s64, v17                                // 00000000357C: 6A262240
	v_add_u32_e32 v18, 1, v16                                  // 000000003580: 68242081
	v_cmp_le_u32_e32 vcc, s65, v19                             // 000000003584: 7D962641
	v_subrev_u32_e32 v17, s65, v19                             // 000000003588: 6C222641
	s_nop 0                                                    // 00000000358C: BF800000
	v_cndmask_b32_e32 v16, v16, v18, vcc                       // 000000003590: 00202510
	v_cndmask_b32_e32 v19, v19, v17, vcc                       // 000000003594: 00262313
	v_add_u32_e32 v17, 1, v16                                  // 000000003598: 68222081
	v_cmp_le_u32_e32 vcc, s65, v19                             // 00000000359C: 7D962641
	s_nop 1                                                    // 0000000035A0: BF800001
	v_cndmask_b32_e32 v19, v16, v17, vcc                       // 0000000035A4: 00262310
	s_nop 3                                                    // 0000000035A8: BF800003
	v_readfirstlane_b32 s66, v19                               // 0000000035AC: 7E840513
	s_nop 3                                                    // 0000000035B0: BF800003
	s_mov_b32 s49, 0x7060302                                   // 0000000035B4: BEB100FF 07060302
	s_mov_b32 s50, 0x5040100                                   // 0000000035BC: BEB200FF 05040100
	v_mov_b32_e32 v41, 0xffff0000                              // 0000000035C4: 7E5202FF FFFF0000
	v_mov_b32_e32 v42, 0x7fff0000                              // 0000000035CC: 7E5402FF 7FFF0000
	v_mov_b32_e32 v43, 0x7fff                                  // 0000000035D4: 7E5602FF 00007FFF
	v_lshrrev_b32_e32 v16, 5, v0                               // 0000000035DC: 20200085
	v_sub_u32_e32 v16, 1, v16                                  // 0000000035E0: 6A202081
	v_mul_i32_i24_e32 v32, 0x80, v16                           // 0000000035E4: 0C4020FF 00000080
	v_and_b32_e32 v16, 31, v0                                  // 0000000035EC: 2620009F
	v_mul_i32_i24_e32 v16, 4, v16                              // 0000000035F0: 0C202084
	v_add_u32_e32 v32, v16, v32                                // 0000000035F4: 68404110
	s_mov_b32 s60, 0                                           // 0000000035F8: BEBC0080
	s_mov_b32 s35, 0                                           // 0000000035FC: BEA30080
	s_mul_i32 s43, 32, s61                                     // 000000003600: 922B3DA0
	s_mul_i32 s44, 32, s80                                     // 000000003604: 922C50A0
	s_mul_i32 s40, s92, s62                                    // 000000003608: 92283E5C
	s_mul_hi_u32 s42, s92, s62                                 // 00000000360C: 962A3E5C
	s_and_b32 s42, s42, 0xffff                                 // 000000003610: 862AFF2A 0000FFFF
	s_mul_i32 s41, s2, s32                                     // 000000003618: 92292002
	s_add_u32 s40, s40, s41                                    // 00000000361C: 80282928
	s_add_u32 s8, s40, s8                                      // 000000003620: 80080828
	s_addc_u32 s9, s42, s9                                     // 000000003624: 8209092A
	s_mul_i32 s40, s92, s83                                    // 000000003628: 9228535C
	s_mul_hi_u32 s42, s92, s83                                 // 00000000362C: 962A535C
	s_and_b32 s42, s42, 0xffff                                 // 000000003630: 862AFF2A 0000FFFF
	s_mul_i32 s41, s2, s84                                     // 000000003638: 92295402
	s_add_u32 s40, s40, s41                                    // 00000000363C: 80282928
	s_add_u32 s20, s40, s20                                    // 000000003640: 80141428
	s_addc_u32 s21, s42, s21                                   // 000000003644: 8215152A
	s_mul_i32 s40, s2, s86                                     // 000000003648: 92285602
	s_mul_i32 s41, s92, 4                                      // 00000000364C: 9229845C
	s_add_i32 s40, s40, s41                                    // 000000003650: 81282928
	s_add_u32 s24, s40, s24                                    // 000000003654: 80181828
	s_addc_u32 s25, 0, s25                                     // 000000003658: 82191980
	s_mul_i32 s40, s93, s61                                    // 00000000365C: 92283D5D
	s_mul_hi_u32 s42, s93, s61                                 // 000000003660: 962A3D5D
	s_and_b32 s42, s42, 0xffff                                 // 000000003664: 862AFF2A 0000FFFF
	s_mul_i32 s41, s66, s47                                    // 00000000366C: 92292F42
	s_add_u32 s40, s40, s41                                    // 000000003670: 80282928
	s_add_u32 s12, s40, s12                                    // 000000003674: 800C0C28
	s_addc_u32 s13, s42, s13                                   // 000000003678: 820D0D2A
	s_mul_i32 s40, s93, s80                                    // 00000000367C: 9228505D
	s_mul_hi_u32 s42, s93, s80                                 // 000000003680: 962A505D
	s_and_b32 s42, s42, 0xffff                                 // 000000003684: 862AFF2A 0000FFFF
	s_mul_i32 s41, s66, s81                                    // 00000000368C: 92295142
	s_add_u32 s40, s40, s41                                    // 000000003690: 80282928
	s_add_u32 s16, s40, s16                                    // 000000003694: 80101028
	s_addc_u32 s17, s42, s17                                   // 000000003698: 8211112A
	s_mov_b32 s52, 0                                           // 00000000369C: BEB40080
	s_mov_b32 s53, 32                                          // 0000000036A0: BEB500A0
	s_mov_b32 s36, 0                                           // 0000000036A4: BEA40080
	s_mov_b32 s29, 0x3fb8aa3b                                  // 0000000036A8: BE9D00FF 3FB8AA3B
	v_mov_b32_e32 v31, 0xff800000                              // 0000000036B0: 7E3E02FF FF800000
	s_mov_b32 s59, 0                                           // 0000000036B8: BEBB0080
	s_lshr_b32 s54, s7, 5                                      // 0000000036BC: 8F368507
	s_lshl_b32 s54, s54, 5                                     // 0000000036C0: 8E368536
	v_lshrrev_b32_e32 v16, 5, v0                               // 0000000036C4: 20200085
	v_mul_i32_i24_e32 v30, 4, v16                              // 0000000036C8: 0C3C2084
	s_mov_b32 s38, s7                                          // 0000000036CC: BEA60007
	s_nop 0                                                    // 0000000036D0: BF800000
	s_mov_b32 s39, 0                                           // 0000000036D4: BEA70080
	v_mov_b32_e32 v17, s29                                     // 0000000036D8: 7E22021D
	v_mov_b32_e32 v16, s28                                     // 0000000036DC: 7E20021C
	v_mul_f32_e32 v16, s29, v16                                // 0000000036E0: 0A20201D
	v_rcp_f32_e32 v17, v17                                     // 0000000036E4: 7E224511
	v_mov_b32_e32 v22, 0                                       // 0000000036E8: 7E2C0280
	v_mov_b32_e32 v28, 0xff7fffff                              // 0000000036EC: 7E3802FF FF7FFFFF
	v_mov_b32_e32 v20, 0                                       // 0000000036F4: 7E280280
	v_mov_b32_e32 v22, 0                                       // 0000000036F8: 7E2C0280
	v_readfirstlane_b32 s56, v16                               // 0000000036FC: 7E700510
	v_readfirstlane_b32 s45, v17                               // 000000003700: 7E5A0511
	v_rcp_f32_e32 v16, v16                                     // 000000003704: 7E204510
	s_nop 1                                                    // 000000003708: BF800001
	v_mul_f32_e32 v16, v28, v16                                // 00000000370C: 0A20211C
	v_max_f32_e32 v28, v28, v16                                // 000000003710: 1638211C
	s_mul_i32 s63, s4, s31                                     // 000000003714: 923F1F04
	v_lshlrev_b32_e32 v8, 2, v0                                // 000000003718: 24100082
	s_mul_i32 s40, s5, s62                                     // 00000000371C: 92283E05
	v_add_u32_e32 v8, s40, v8                                  // 000000003720: 68101028
	s_mul_i32 s41, 8, s62                                      // 000000003724: 92293E88
	v_add_u32_e32 v9, s41, v8                                  // 000000003728: 68121029
	v_add_u32_e32 v10, s41, v9                                 // 00000000372C: 68141229
	v_add_u32_e32 v11, s41, v10                                // 000000003730: 68161429
	v_add_u32_e32 v8, s63, v8                                  // 000000003734: 6810103F
	v_add_u32_e32 v9, s63, v9                                  // 000000003738: 6812123F
	v_add_u32_e32 v10, s63, v10                                // 00000000373C: 6814143F
	v_add_u32_e32 v11, s63, v11                                // 000000003740: 6816163F
	s_mul_i32 s40, s5, 0x110                                   // 000000003744: 9228FF05 00000110
	s_add_u32 s58, 0x4400, s40                                 // 00000000374C: 803A28FF 00004400
	s_mov_b32 s57, s56                                         // 000000003754: BEB90038
	s_mov_b32 s40, 0                                           // 000000003758: BEA80080
	s_add_u32 m0, s40, s58                                     // 00000000375C: 807C3A28
	s_mul_i32 s40, 0, s62                                      // 000000003760: 92283E80
	v_add_u32_e32 v4, s40, v8                                  // 000000003764: 68081028
	v_add_u32_e32 v5, s40, v9                                  // 000000003768: 680A1228
	v_add_u32_e32 v6, s40, v10                                 // 00000000376C: 680C1428
	v_add_u32_e32 v7, s40, v11                                 // 000000003770: 680E1628
	buffer_load_dword v4, s[8:11], s59 offen lds               // 000000003774: E0511000 3B020004
	s_add_u32 m0, 0x880, m0                                    // 00000000377C: 807C7CFF 00000880
	buffer_load_dword v5, s[8:11], s59 offen lds               // 000000003784: E0511000 3B020005
	s_add_u32 m0, 0x880, m0                                    // 00000000378C: 807C7CFF 00000880
	buffer_load_dword v6, s[8:11], s59 offen lds               // 000000003794: E0511000 3B020006
	s_add_u32 m0, 0x880, m0                                    // 00000000379C: 807C7CFF 00000880
	buffer_load_dword v7, s[8:11], s59 offen lds               // 0000000037A4: E0511000 3B020007
	s_add_u32 m0, 0x880, m0                                    // 0000000037AC: 807C7CFF 00000880
	s_mov_b32 s40, 0x2200                                      // 0000000037B4: BEA800FF 00002200
	s_add_u32 m0, s40, s58                                     // 0000000037BC: 807C3A28
	s_mul_i32 s40, 32, s62                                     // 0000000037C0: 92283EA0
	v_add_u32_e32 v4, s40, v8                                  // 0000000037C4: 68081028
	v_add_u32_e32 v5, s40, v9                                  // 0000000037C8: 680A1228
	v_add_u32_e32 v6, s40, v10                                 // 0000000037CC: 680C1428
	v_add_u32_e32 v7, s40, v11                                 // 0000000037D0: 680E1628
	buffer_load_dword v4, s[8:11], s59 offen lds               // 0000000037D4: E0511000 3B020004
	s_add_u32 m0, 0x880, m0                                    // 0000000037DC: 807C7CFF 00000880
	buffer_load_dword v5, s[8:11], s59 offen lds               // 0000000037E4: E0511000 3B020005
	s_add_u32 m0, 0x880, m0                                    // 0000000037EC: 807C7CFF 00000880
	buffer_load_dword v6, s[8:11], s59 offen lds               // 0000000037F4: E0511000 3B020006
	s_add_u32 m0, 0x880, m0                                    // 0000000037FC: 807C7CFF 00000880
	buffer_load_dword v7, s[8:11], s59 offen lds               // 000000003804: E0511000 3B020007
	s_add_u32 m0, 0x880, m0                                    // 00000000380C: 807C7CFF 00000880
	s_mov_b32 s40, 0x4400                                      // 000000003814: BEA800FF 00004400
	s_add_u32 m0, s40, s58                                     // 00000000381C: 807C3A28
	s_mul_i32 s40, 64, s62                                     // 000000003820: 92283EC0
	v_add_u32_e32 v4, s40, v8                                  // 000000003824: 68081028
	v_add_u32_e32 v5, s40, v9                                  // 000000003828: 680A1228
	v_add_u32_e32 v6, s40, v10                                 // 00000000382C: 680C1428
	v_add_u32_e32 v7, s40, v11                                 // 000000003830: 680E1628
	buffer_load_dword v4, s[8:11], s59 offen lds               // 000000003834: E0511000 3B020004
	s_add_u32 m0, 0x880, m0                                    // 00000000383C: 807C7CFF 00000880
	buffer_load_dword v5, s[8:11], s59 offen lds               // 000000003844: E0511000 3B020005
	s_add_u32 m0, 0x880, m0                                    // 00000000384C: 807C7CFF 00000880
	buffer_load_dword v6, s[8:11], s59 offen lds               // 000000003854: E0511000 3B020006
	s_add_u32 m0, 0x880, m0                                    // 00000000385C: 807C7CFF 00000880
	buffer_load_dword v7, s[8:11], s59 offen lds               // 000000003864: E0511000 3B020007
	s_add_u32 m0, 0x880, m0                                    // 00000000386C: 807C7CFF 00000880
	s_mov_b32 s40, 0x6600                                      // 000000003874: BEA800FF 00006600
	s_add_u32 m0, s40, s58                                     // 00000000387C: 807C3A28
	s_mul_i32 s40, 0x60, s62                                   // 000000003880: 92283EFF 00000060
	v_add_u32_e32 v4, s40, v8                                  // 000000003888: 68081028
	v_add_u32_e32 v5, s40, v9                                  // 00000000388C: 680A1228
	v_add_u32_e32 v6, s40, v10                                 // 000000003890: 680C1428
	v_add_u32_e32 v7, s40, v11                                 // 000000003894: 680E1628
	buffer_load_dword v4, s[8:11], s59 offen lds               // 000000003898: E0511000 3B020004
	s_add_u32 m0, 0x880, m0                                    // 0000000038A0: 807C7CFF 00000880
	buffer_load_dword v5, s[8:11], s59 offen lds               // 0000000038A8: E0511000 3B020005
	s_add_u32 m0, 0x880, m0                                    // 0000000038B0: 807C7CFF 00000880
	buffer_load_dword v6, s[8:11], s59 offen lds               // 0000000038B8: E0511000 3B020006
	s_add_u32 m0, 0x880, m0                                    // 0000000038C0: 807C7CFF 00000880
	buffer_load_dword v7, s[8:11], s59 offen lds               // 0000000038C8: E0511000 3B020007
	s_add_u32 m0, 0x880, m0                                    // 0000000038D0: 807C7CFF 00000880
	v_mov_b32_e32 v96, 0                                       // 0000000038D8: 7EC00280
	v_mov_b32_e32 v97, 0                                       // 0000000038DC: 7EC20280
	v_mov_b32_e32 v98, 0                                       // 0000000038E0: 7EC40280
	v_mov_b32_e32 v99, 0                                       // 0000000038E4: 7EC60280
	v_mov_b32_e32 v100, 0                                      // 0000000038E8: 7EC80280
	v_mov_b32_e32 v101, 0                                      // 0000000038EC: 7ECA0280
	v_mov_b32_e32 v102, 0                                      // 0000000038F0: 7ECC0280
	v_mov_b32_e32 v103, 0                                      // 0000000038F4: 7ECE0280
	v_mov_b32_e32 v104, 0                                      // 0000000038F8: 7ED00280
	v_mov_b32_e32 v105, 0                                      // 0000000038FC: 7ED20280
	v_mov_b32_e32 v106, 0                                      // 000000003900: 7ED40280
	v_mov_b32_e32 v107, 0                                      // 000000003904: 7ED60280
	v_mov_b32_e32 v108, 0                                      // 000000003908: 7ED80280
	v_mov_b32_e32 v109, 0                                      // 00000000390C: 7EDA0280
	v_mov_b32_e32 v110, 0                                      // 000000003910: 7EDC0280
	v_mov_b32_e32 v111, 0                                      // 000000003914: 7EDE0280
	v_mov_b32_e32 v112, 0                                      // 000000003918: 7EE00280
	v_mov_b32_e32 v113, 0                                      // 00000000391C: 7EE20280
	v_mov_b32_e32 v114, 0                                      // 000000003920: 7EE40280
	v_mov_b32_e32 v115, 0                                      // 000000003924: 7EE60280
	v_mov_b32_e32 v116, 0                                      // 000000003928: 7EE80280
	v_mov_b32_e32 v117, 0                                      // 00000000392C: 7EEA0280
	v_mov_b32_e32 v118, 0                                      // 000000003930: 7EEC0280
	v_mov_b32_e32 v119, 0                                      // 000000003934: 7EEE0280
	v_mov_b32_e32 v120, 0                                      // 000000003938: 7EF00280
	v_mov_b32_e32 v121, 0                                      // 00000000393C: 7EF20280
	v_mov_b32_e32 v122, 0                                      // 000000003940: 7EF40280
	v_mov_b32_e32 v123, 0                                      // 000000003944: 7EF60280
	v_mov_b32_e32 v124, 0                                      // 000000003948: 7EF80280
	v_mov_b32_e32 v125, 0                                      // 00000000394C: 7EFA0280
	v_mov_b32_e32 v126, 0                                      // 000000003950: 7EFC0280
	v_mov_b32_e32 v127, 0                                      // 000000003954: 7EFE0280
	v_lshrrev_b32_e32 v16, 5, v0                               // 000000003958: 20200085
	v_mul_i32_i24_e32 v17, 4, v16                              // 00000000395C: 0C222084
	v_and_b32_e32 v16, 31, v0                                  // 000000003960: 2620009F
	v_mul_i32_i24_e32 v2, 0x44, v16                            // 000000003964: 0C0420FF 00000044
	v_add_u32_e32 v2, v2, v17                                  // 00000000396C: 68042302
	v_lshlrev_b32_e32 v2, 2, v2                                // 000000003970: 24040482
	s_and_b32 s40, 3, s5                                       // 000000003974: 86280583
	s_mul_i32 s40, s40, 0x2200                                 // 000000003978: 9228FF28 00002200
	v_add_u32_e32 v2, s40, v2                                  // 000000003980: 68040428
	s_waitcnt vmcnt(0) expcnt(0) lgkmcnt(0)                    // 000000003984: BF8C0000
	s_barrier                                                  // 000000003988: BF8A0000
	s_cmp_lt_i32 s5, 4                                         // 00000000398C: BF048405
	s_cbranch_scc0 label_01B5                                  // 000000003990: BF840010
	ds_read_b128 v[160:163], v2 offset:17408                   // 000000003994: D9FE4400 A0000002
	ds_read_b128 v[164:167], v2 offset:17440                   // 00000000399C: D9FE4420 A4000002
	ds_read_b128 v[168:171], v2 offset:17472                   // 0000000039A4: D9FE4440 A8000002
	ds_read_b128 v[172:175], v2 offset:17504                   // 0000000039AC: D9FE4460 AC000002
	ds_read_b128 v[176:179], v2 offset:17536                   // 0000000039B4: D9FE4480 B0000002
	ds_read_b128 v[180:183], v2 offset:17568                   // 0000000039BC: D9FE44A0 B4000002
	ds_read_b128 v[184:187], v2 offset:17600                   // 0000000039C4: D9FE44C0 B8000002
	ds_read_b128 v[188:191], v2 offset:17632                   // 0000000039CC: D9FE44E0 BC000002

00000000000039d4 <label_01B5>:
	s_waitcnt vmcnt(0) expcnt(0) lgkmcnt(0)                    // 0000000039D4: BF8C0000
	s_barrier                                                  // 0000000039D8: BF8A0000
	s_mov_b32 s40, 0                                           // 0000000039DC: BEA80080
	s_add_u32 m0, s40, s58                                     // 0000000039E0: 807C3A28
	s_mul_i32 s40, 0x80, s62                                   // 0000000039E4: 92283EFF 00000080
	v_add_u32_e32 v4, s40, v8                                  // 0000000039EC: 68081028
	v_add_u32_e32 v5, s40, v9                                  // 0000000039F0: 680A1228
	v_add_u32_e32 v6, s40, v10                                 // 0000000039F4: 680C1428
	v_add_u32_e32 v7, s40, v11                                 // 0000000039F8: 680E1628
	buffer_load_dword v4, s[8:11], s59 offen lds               // 0000000039FC: E0511000 3B020004
	s_add_u32 m0, 0x880, m0                                    // 000000003A04: 807C7CFF 00000880
	buffer_load_dword v5, s[8:11], s59 offen lds               // 000000003A0C: E0511000 3B020005
	s_add_u32 m0, 0x880, m0                                    // 000000003A14: 807C7CFF 00000880
	buffer_load_dword v6, s[8:11], s59 offen lds               // 000000003A1C: E0511000 3B020006
	s_add_u32 m0, 0x880, m0                                    // 000000003A24: 807C7CFF 00000880
	buffer_load_dword v7, s[8:11], s59 offen lds               // 000000003A2C: E0511000 3B020007
	s_add_u32 m0, 0x880, m0                                    // 000000003A34: 807C7CFF 00000880
	s_mov_b32 s40, 0x2200                                      // 000000003A3C: BEA800FF 00002200
	s_add_u32 m0, s40, s58                                     // 000000003A44: 807C3A28
	s_mul_i32 s40, 0xa0, s62                                   // 000000003A48: 92283EFF 000000A0
	v_add_u32_e32 v4, s40, v8                                  // 000000003A50: 68081028
	v_add_u32_e32 v5, s40, v9                                  // 000000003A54: 680A1228
	v_add_u32_e32 v6, s40, v10                                 // 000000003A58: 680C1428
	v_add_u32_e32 v7, s40, v11                                 // 000000003A5C: 680E1628
	buffer_load_dword v4, s[8:11], s59 offen lds               // 000000003A60: E0511000 3B020004
	s_add_u32 m0, 0x880, m0                                    // 000000003A68: 807C7CFF 00000880
	buffer_load_dword v5, s[8:11], s59 offen lds               // 000000003A70: E0511000 3B020005
	s_add_u32 m0, 0x880, m0                                    // 000000003A78: 807C7CFF 00000880
	buffer_load_dword v6, s[8:11], s59 offen lds               // 000000003A80: E0511000 3B020006
	s_add_u32 m0, 0x880, m0                                    // 000000003A88: 807C7CFF 00000880
	buffer_load_dword v7, s[8:11], s59 offen lds               // 000000003A90: E0511000 3B020007
	s_add_u32 m0, 0x880, m0                                    // 000000003A98: 807C7CFF 00000880
	s_mov_b32 s40, 0x4400                                      // 000000003AA0: BEA800FF 00004400
	s_add_u32 m0, s40, s58                                     // 000000003AA8: 807C3A28
	s_mul_i32 s40, 0xc0, s62                                   // 000000003AAC: 92283EFF 000000C0
	v_add_u32_e32 v4, s40, v8                                  // 000000003AB4: 68081028
	v_add_u32_e32 v5, s40, v9                                  // 000000003AB8: 680A1228
	v_add_u32_e32 v6, s40, v10                                 // 000000003ABC: 680C1428
	v_add_u32_e32 v7, s40, v11                                 // 000000003AC0: 680E1628
	buffer_load_dword v4, s[8:11], s59 offen lds               // 000000003AC4: E0511000 3B020004
	s_add_u32 m0, 0x880, m0                                    // 000000003ACC: 807C7CFF 00000880
	buffer_load_dword v5, s[8:11], s59 offen lds               // 000000003AD4: E0511000 3B020005
	s_add_u32 m0, 0x880, m0                                    // 000000003ADC: 807C7CFF 00000880
	buffer_load_dword v6, s[8:11], s59 offen lds               // 000000003AE4: E0511000 3B020006
	s_add_u32 m0, 0x880, m0                                    // 000000003AEC: 807C7CFF 00000880
	buffer_load_dword v7, s[8:11], s59 offen lds               // 000000003AF4: E0511000 3B020007
	s_add_u32 m0, 0x880, m0                                    // 000000003AFC: 807C7CFF 00000880
	s_mov_b32 s40, 0x6600                                      // 000000003B04: BEA800FF 00006600
	s_add_u32 m0, s40, s58                                     // 000000003B0C: 807C3A28
	s_mul_i32 s40, 0xe0, s62                                   // 000000003B10: 92283EFF 000000E0
	v_add_u32_e32 v4, s40, v8                                  // 000000003B18: 68081028
	v_add_u32_e32 v5, s40, v9                                  // 000000003B1C: 680A1228
	v_add_u32_e32 v6, s40, v10                                 // 000000003B20: 680C1428
	v_add_u32_e32 v7, s40, v11                                 // 000000003B24: 680E1628
	buffer_load_dword v4, s[8:11], s59 offen lds               // 000000003B28: E0511000 3B020004
	s_add_u32 m0, 0x880, m0                                    // 000000003B30: 807C7CFF 00000880
	buffer_load_dword v5, s[8:11], s59 offen lds               // 000000003B38: E0511000 3B020005
	s_add_u32 m0, 0x880, m0                                    // 000000003B40: 807C7CFF 00000880
	buffer_load_dword v6, s[8:11], s59 offen lds               // 000000003B48: E0511000 3B020006
	s_add_u32 m0, 0x880, m0                                    // 000000003B50: 807C7CFF 00000880
	buffer_load_dword v7, s[8:11], s59 offen lds               // 000000003B58: E0511000 3B020007
	s_add_u32 m0, 0x880, m0                                    // 000000003B60: 807C7CFF 00000880
	v_mov_b32_e32 v128, 0                                      // 000000003B68: 7F000280
	v_mov_b32_e32 v129, 0                                      // 000000003B6C: 7F020280
	v_mov_b32_e32 v130, 0                                      // 000000003B70: 7F040280
	v_mov_b32_e32 v131, 0                                      // 000000003B74: 7F060280
	v_mov_b32_e32 v132, 0                                      // 000000003B78: 7F080280
	v_mov_b32_e32 v133, 0                                      // 000000003B7C: 7F0A0280
	v_mov_b32_e32 v134, 0                                      // 000000003B80: 7F0C0280
	v_mov_b32_e32 v135, 0                                      // 000000003B84: 7F0E0280
	v_mov_b32_e32 v136, 0                                      // 000000003B88: 7F100280
	v_mov_b32_e32 v137, 0                                      // 000000003B8C: 7F120280
	v_mov_b32_e32 v138, 0                                      // 000000003B90: 7F140280
	v_mov_b32_e32 v139, 0                                      // 000000003B94: 7F160280
	v_mov_b32_e32 v140, 0                                      // 000000003B98: 7F180280
	v_mov_b32_e32 v141, 0                                      // 000000003B9C: 7F1A0280
	v_mov_b32_e32 v142, 0                                      // 000000003BA0: 7F1C0280
	v_mov_b32_e32 v143, 0                                      // 000000003BA4: 7F1E0280
	v_mov_b32_e32 v144, 0                                      // 000000003BA8: 7F200280
	v_mov_b32_e32 v145, 0                                      // 000000003BAC: 7F220280
	v_mov_b32_e32 v146, 0                                      // 000000003BB0: 7F240280
	v_mov_b32_e32 v147, 0                                      // 000000003BB4: 7F260280
	v_mov_b32_e32 v148, 0                                      // 000000003BB8: 7F280280
	v_mov_b32_e32 v149, 0                                      // 000000003BBC: 7F2A0280
	v_mov_b32_e32 v150, 0                                      // 000000003BC0: 7F2C0280
	v_mov_b32_e32 v151, 0                                      // 000000003BC4: 7F2E0280
	v_mov_b32_e32 v152, 0                                      // 000000003BC8: 7F300280
	v_mov_b32_e32 v153, 0                                      // 000000003BCC: 7F320280
	v_mov_b32_e32 v154, 0                                      // 000000003BD0: 7F340280
	v_mov_b32_e32 v155, 0                                      // 000000003BD4: 7F360280
	v_mov_b32_e32 v156, 0                                      // 000000003BD8: 7F380280
	v_mov_b32_e32 v157, 0                                      // 000000003BDC: 7F3A0280
	v_mov_b32_e32 v158, 0                                      // 000000003BE0: 7F3C0280
	v_mov_b32_e32 v159, 0                                      // 000000003BE4: 7F3E0280
	s_cmp_le_u32 s7, 0                                         // 000000003BE8: BF0B8007
	s_cbranch_scc1 label_0E24                                  // 000000003BEC: BF850BE8
	v_lshrrev_b32_e32 v16, 5, v0                               // 000000003BF0: 20200085
	v_mul_i32_i24_e32 v17, 4, v16                              // 000000003BF4: 0C222084
	v_and_b32_e32 v16, 31, v0                                  // 000000003BF8: 2620009F
	v_mul_i32_i24_e32 v12, 0x44, v16                           // 000000003BFC: 0C1820FF 00000044
	v_add_u32_e32 v12, v12, v17                                // 000000003C04: 6818230C
	v_lshlrev_b32_e32 v12, 2, v12                              // 000000003C08: 24181882
	v_lshrrev_b32_e32 v16, 5, v0                               // 000000003C0C: 20200085
	v_mul_i32_i24_e32 v17, 0x80, v16                           // 000000003C10: 0C2220FF 00000080
	v_and_b32_e32 v16, 30, v0                                  // 000000003C18: 2620009E
	v_add_u32_e32 v13, v17, v16                                // 000000003C1C: 681A2111
	v_and_b32_e32 v16, 1, v0                                   // 000000003C20: 26200081
	v_mul_i32_i24_e32 v16, 0x410, v16                          // 000000003C24: 0C2020FF 00000410
	v_add_u32_e32 v13, v16, v13                                // 000000003C2C: 681A1B10
	v_lshlrev_b32_e32 v13, 2, v13                              // 000000003C30: 241A1A82
	v_lshlrev_b32_e32 v14, 1, v0                               // 000000003C34: 241C0081
	s_mul_i32 s40, s5, 0x80                                    // 000000003C38: 9228FF05 00000080
	v_add_u32_e32 v14, s40, v14                                // 000000003C40: 681C1C28
	v_lshlrev_b32_e32 v14, 2, v14                              // 000000003C44: 241C1C82
	v_lshlrev_b32_e32 v4, 2, v0                                // 000000003C48: 24080082
	s_mul_i32 s40, s5, s61                                     // 000000003C4C: 92283D05
	v_add_u32_e32 v4, s40, v4                                  // 000000003C50: 68080828
	s_mul_i32 s41, 8, s61                                      // 000000003C54: 92293D88
	v_add_u32_e32 v5, s41, v4                                  // 000000003C58: 680A0829
	v_add_u32_e32 v6, s41, v5                                  // 000000003C5C: 680C0A29
	v_add_u32_e32 v7, s41, v6                                  // 000000003C60: 680E0C29
	s_mul_i32 s40, s5, 0x110                                   // 000000003C64: 9228FF05 00000110
	s_add_u32 s68, 0, s40                                      // 000000003C6C: 80442880
	s_add_u32 s69, 0x2200, s68                                 // 000000003C70: 804544FF 00002200
	v_lshlrev_b32_e32 v8, 2, v0                                // 000000003C78: 24100082
	s_mul_i32 s40, s5, s80                                     // 000000003C7C: 92285005
	s_mul_i32 s40, s40, 4                                      // 000000003C80: 92288428
	v_add_u32_e32 v8, s40, v8                                  // 000000003C84: 68101028
	v_add_u32_e32 v9, s80, v8                                  // 000000003C88: 68121050
	v_add_u32_e32 v10, s80, v9                                 // 000000003C8C: 68141250
	v_add_u32_e32 v11, s80, v10                                // 000000003C90: 68161450
	s_waitcnt vmcnt(0) expcnt(0) lgkmcnt(0)                    // 000000003C94: BF8C0000
	s_barrier                                                  // 000000003C98: BF8A0000
	s_cmp_lt_i32 s5, 4                                         // 000000003C9C: BF048405
	s_cbranch_scc1 label_0279                                  // 000000003CA0: BF850010
	ds_read_b128 v[160:163], v2 offset:17408                   // 000000003CA4: D9FE4400 A0000002
	ds_read_b128 v[164:167], v2 offset:17440                   // 000000003CAC: D9FE4420 A4000002
	ds_read_b128 v[168:171], v2 offset:17472                   // 000000003CB4: D9FE4440 A8000002
	ds_read_b128 v[172:175], v2 offset:17504                   // 000000003CBC: D9FE4460 AC000002
	ds_read_b128 v[176:179], v2 offset:17536                   // 000000003CC4: D9FE4480 B0000002
	ds_read_b128 v[180:183], v2 offset:17568                   // 000000003CCC: D9FE44A0 B4000002
	ds_read_b128 v[184:187], v2 offset:17600                   // 000000003CD4: D9FE44C0 B8000002
	ds_read_b128 v[188:191], v2 offset:17632                   // 000000003CDC: D9FE44E0 BC000002

0000000000003ce4 <label_0279>:
	s_waitcnt vmcnt(0) expcnt(0) lgkmcnt(0)                    // 000000003CE4: BF8C0000
	s_barrier                                                  // 000000003CE8: BF8A0000
	s_mov_b32 m0, s68                                          // 000000003CEC: BEFC0044
	buffer_load_dword v4, s[12:15], s60 offen lds              // 000000003CF0: E0511000 3C030004
	s_add_u32 m0, 0x880, m0                                    // 000000003CF8: 807C7CFF 00000880
	buffer_load_dword v5, s[12:15], s60 offen lds              // 000000003D00: E0511000 3C030005
	s_add_u32 m0, 0x880, m0                                    // 000000003D08: 807C7CFF 00000880
	buffer_load_dword v6, s[12:15], s60 offen lds              // 000000003D10: E0511000 3C030006
	s_add_u32 m0, 0x880, m0                                    // 000000003D18: 807C7CFF 00000880
	buffer_load_dword v7, s[12:15], s60 offen lds              // 000000003D20: E0511000 3C030007
	s_add_u32 m0, 0x880, m0                                    // 000000003D28: 807C7CFF 00000880
	s_add_i32 s60, s43, s60                                    // 000000003D30: 813C3C2B
	s_waitcnt vmcnt(0)                                         // 000000003D34: BF8C0F70
	s_barrier                                                  // 000000003D38: BF8A0000
	ds_read_b128 v[192:195], v12                               // 000000003D3C: D9FE0000 C000000C
	ds_read_b128 v[196:199], v12 offset:32                     // 000000003D44: D9FE0020 C400000C
	ds_read_b128 v[200:203], v12 offset:64                     // 000000003D4C: D9FE0040 C800000C
	ds_read_b128 v[204:207], v12 offset:96                     // 000000003D54: D9FE0060 CC00000C
	ds_read_b128 v[208:211], v12 offset:128                    // 000000003D5C: D9FE0080 D000000C
	ds_read_b128 v[212:215], v12 offset:160                    // 000000003D64: D9FE00A0 D400000C
	ds_read_b128 v[216:219], v12 offset:192                    // 000000003D6C: D9FE00C0 D800000C
	ds_read_b128 v[220:223], v12 offset:224                    // 000000003D74: D9FE00E0 DC00000C
	s_waitcnt lgkmcnt(0)                                       // 000000003D7C: BF8CC07F
	s_barrier                                                  // 000000003D80: BF8A0000
	s_mov_b32 m0, s69                                          // 000000003D84: BEFC0045
	v_mfma_f32_32x32x8_bf16 v[64:79], v[192:193], v[160:161], 0// 000000003D88: D3E00040 020341C0
	buffer_load_dword v4, s[12:15], s60 offen lds              // 000000003D90: E0511000 3C030004
	s_add_u32 m0, 0x880, m0                                    // 000000003D98: 807C7CFF 00000880
	v_mfma_f32_32x32x8_bf16 v[64:79], v[194:195], v[162:163], v[64:79]// 000000003DA0: D3E00040 050345C2
	v_mfma_f32_32x32x8_bf16 v[64:79], v[196:197], v[164:165], v[64:79]// 000000003DA8: D3E00040 050349C4
	buffer_load_dword v5, s[12:15], s60 offen lds              // 000000003DB0: E0511000 3C030005
	s_add_u32 m0, 0x880, m0                                    // 000000003DB8: 807C7CFF 00000880
	v_mfma_f32_32x32x8_bf16 v[64:79], v[198:199], v[166:167], v[64:79]// 000000003DC0: D3E00040 05034DC6
	v_mfma_f32_32x32x8_bf16 v[64:79], v[200:201], v[168:169], v[64:79]// 000000003DC8: D3E00040 050351C8
	buffer_load_dword v6, s[12:15], s60 offen lds              // 000000003DD0: E0511000 3C030006
	s_add_u32 m0, 0x880, m0                                    // 000000003DD8: 807C7CFF 00000880
	v_mfma_f32_32x32x8_bf16 v[64:79], v[202:203], v[170:171], v[64:79]// 000000003DE0: D3E00040 050355CA
	v_mfma_f32_32x32x8_bf16 v[64:79], v[204:205], v[172:173], v[64:79]// 000000003DE8: D3E00040 050359CC
	buffer_load_dword v7, s[12:15], s60 offen lds              // 000000003DF0: E0511000 3C030007
	s_add_u32 m0, 0x880, m0                                    // 000000003DF8: 807C7CFF 00000880
	v_mfma_f32_32x32x8_bf16 v[64:79], v[206:207], v[174:175], v[64:79]// 000000003E00: D3E00040 05035DCE
	v_mfma_f32_32x32x8_bf16 v[64:79], v[208:209], v[176:177], v[64:79]// 000000003E08: D3E00040 050361D0
	buffer_load_dword v224, v8, s[16:19], s35 offen            // 000000003E10: E0501000 2304E008
	v_mfma_f32_32x32x8_bf16 v[64:79], v[210:211], v[178:179], v[64:79]// 000000003E18: D3E00040 050365D2
	v_mfma_f32_32x32x8_bf16 v[64:79], v[212:213], v[180:181], v[64:79]// 000000003E20: D3E00040 050369D4
	buffer_load_dword v225, v9, s[16:19], s35 offen            // 000000003E28: E0501000 2304E109
	v_mfma_f32_32x32x8_bf16 v[64:79], v[214:215], v[182:183], v[64:79]// 000000003E30: D3E00040 05036DD6
	v_mfma_f32_32x32x8_bf16 v[64:79], v[216:217], v[184:185], v[64:79]// 000000003E38: D3E00040 050371D8
	buffer_load_dword v226, v10, s[16:19], s35 offen           // 000000003E40: E0501000 2304E20A
	v_mfma_f32_32x32x8_bf16 v[64:79], v[218:219], v[186:187], v[64:79]// 000000003E48: D3E00040 050375DA
	v_mfma_f32_32x32x8_bf16 v[64:79], v[220:221], v[188:189], v[64:79]// 000000003E50: D3E00040 050379DC
	buffer_load_dword v227, v11, s[16:19], s35 offen           // 000000003E58: E0501000 2304E30B
	v_mfma_f32_32x32x8_bf16 v[64:79], v[222:223], v[190:191], v[64:79]// 000000003E60: D3E00040 05037DDE
	s_add_i32 s60, s43, s60                                    // 000000003E68: 813C3C2B
	s_add_i32 s35, s44, s35                                    // 000000003E6C: 8123232C
	s_cmp_lt_i32 s52, s54                                      // 000000003E70: BF043634
	s_cbranch_scc1 label_0321                                  // 000000003E74: BF850043
	s_sub_i32 s40, s7, s52                                     // 000000003E78: 81A83407
	v_sub_i32 v16, s40, v30                                    // 000000003E7C: D29D0010 00023C28
	v_cmp_lt_i32_e64 s[72:73], 0, v16                          // 000000003E84: D0C10048 00022080
	v_cmp_lt_i32_e64 s[74:75], 1, v16                          // 000000003E8C: D0C1004A 00022081
	v_cndmask_b32_e64 v64, v31, v64, s[72:73]                  // 000000003E94: D1000040 0122811F
	v_cndmask_b32_e64 v65, v31, v65, s[74:75]                  // 000000003E9C: D1000041 012A831F
	v_cmp_lt_i32_e64 s[72:73], 2, v16                          // 000000003EA4: D0C10048 00022082
	v_cmp_lt_i32_e64 s[74:75], 3, v16                          // 000000003EAC: D0C1004A 00022083
	v_cndmask_b32_e64 v66, v31, v66, s[72:73]                  // 000000003EB4: D1000042 0122851F
	v_cndmask_b32_e64 v67, v31, v67, s[74:75]                  // 000000003EBC: D1000043 012A871F
	v_cmp_lt_i32_e64 s[72:73], 8, v16                          // 000000003EC4: D0C10048 00022088
	v_cmp_lt_i32_e64 s[74:75], 9, v16                          // 000000003ECC: D0C1004A 00022089
	v_cndmask_b32_e64 v68, v31, v68, s[72:73]                  // 000000003ED4: D1000044 0122891F
	v_cndmask_b32_e64 v69, v31, v69, s[74:75]                  // 000000003EDC: D1000045 012A8B1F
	v_cmp_lt_i32_e64 s[72:73], 10, v16                         // 000000003EE4: D0C10048 0002208A
	v_cmp_lt_i32_e64 s[74:75], 11, v16                         // 000000003EEC: D0C1004A 0002208B
	v_cndmask_b32_e64 v70, v31, v70, s[72:73]                  // 000000003EF4: D1000046 01228D1F
	v_cndmask_b32_e64 v71, v31, v71, s[74:75]                  // 000000003EFC: D1000047 012A8F1F
	v_cmp_lt_i32_e64 s[72:73], 16, v16                         // 000000003F04: D0C10048 00022090
	v_cmp_lt_i32_e64 s[74:75], 17, v16                         // 000000003F0C: D0C1004A 00022091
	v_cndmask_b32_e64 v72, v31, v72, s[72:73]                  // 000000003F14: D1000048 0122911F
	v_cndmask_b32_e64 v73, v31, v73, s[74:75]                  // 000000003F1C: D1000049 012A931F
	v_cmp_lt_i32_e64 s[72:73], 18, v16                         // 000000003F24: D0C10048 00022092
	v_cmp_lt_i32_e64 s[74:75], 19, v16                         // 000000003F2C: D0C1004A 00022093
	v_cndmask_b32_e64 v74, v31, v74, s[72:73]                  // 000000003F34: D100004A 0122951F
	v_cndmask_b32_e64 v75, v31, v75, s[74:75]                  // 000000003F3C: D100004B 012A971F
	v_cmp_lt_i32_e64 s[72:73], 24, v16                         // 000000003F44: D0C10048 00022098
	v_cmp_lt_i32_e64 s[74:75], 25, v16                         // 000000003F4C: D0C1004A 00022099
	v_cndmask_b32_e64 v76, v31, v76, s[72:73]                  // 000000003F54: D100004C 0122991F
	v_cndmask_b32_e64 v77, v31, v77, s[74:75]                  // 000000003F5C: D100004D 012A9B1F
	v_cmp_lt_i32_e64 s[72:73], 26, v16                         // 000000003F64: D0C10048 0002209A
	v_cmp_lt_i32_e64 s[74:75], 27, v16                         // 000000003F6C: D0C1004A 0002209B
	v_cndmask_b32_e64 v78, v31, v78, s[72:73]                  // 000000003F74: D100004E 01229D1F
	v_cndmask_b32_e64 v79, v31, v79, s[74:75]                  // 000000003F7C: D100004F 012A9F1F

0000000000003f84 <label_0321>:
	v_max3_f32 v25, v64, v65, v28                              // 000000003F84: D1D30019 04728340
	v_max3_f32 v25, v66, v67, v25                              // 000000003F8C: D1D30019 04668742
	v_max3_f32 v25, v68, v69, v25                              // 000000003F94: D1D30019 04668B44
	v_max3_f32 v25, v70, v71, v25                              // 000000003F9C: D1D30019 04668F46
	v_max3_f32 v25, v72, v73, v25                              // 000000003FA4: D1D30019 04669348
	v_max3_f32 v25, v74, v75, v25                              // 000000003FAC: D1D30019 0466974A
	v_max3_f32 v25, v76, v77, v25                              // 000000003FB4: D1D30019 04669B4C
	v_max3_f32 v25, v78, v79, v25                              // 000000003FBC: D1D30019 04669F4E
	ds_permute_b32 v24, v32, v25                               // 000000003FC4: D87C0000 18001920
	s_waitcnt lgkmcnt(0)                                       // 000000003FCC: BF8CC07F
	v_max_f32_e32 v25, v24, v25                                // 000000003FD0: 16323318
	v_mov_b32_e32 v20, 0                                       // 000000003FD4: 7E280280
	v_mov_b32_e32 v28, v25                                     // 000000003FD8: 7E380319
	v_mul_f32_e32 v27, s56, v25                                // 000000003FDC: 0A363238
	v_mul_f32_e32 v20, s56, v20                                // 000000003FE0: 0A282838
	v_exp_f32_e32 v20, v20                                     // 000000003FE4: 7E284114
	v_add_f32_e64 v36, 0, -v27                                 // 000000003FE8: D1010024 40023680
	v_mov_b32_e32 v37, v36                                     // 000000003FF0: 7E4A0324
	v_pk_fma_f32 v[64:65], v[64:65], s[56:57], v[36:37]        // 000000003FF4: D3B04040 1C907140
	v_pk_fma_f32 v[66:67], v[66:67], s[56:57], v[36:37]        // 000000003FFC: D3B04042 1C907142
	v_pk_fma_f32 v[68:69], v[68:69], s[56:57], v[36:37]        // 000000004004: D3B04044 1C907144
	v_pk_fma_f32 v[70:71], v[70:71], s[56:57], v[36:37]        // 00000000400C: D3B04046 1C907146
	v_pk_fma_f32 v[72:73], v[72:73], s[56:57], v[36:37]        // 000000004014: D3B04048 1C907148
	v_pk_fma_f32 v[74:75], v[74:75], s[56:57], v[36:37]        // 00000000401C: D3B0404A 1C90714A
	v_pk_fma_f32 v[76:77], v[76:77], s[56:57], v[36:37]        // 000000004024: D3B0404C 1C90714C
	v_pk_fma_f32 v[78:79], v[78:79], s[56:57], v[36:37]        // 00000000402C: D3B0404E 1C90714E
	s_addk_i32 s39, 0x20                                       // 000000004034: B7270020
	s_add_i32 s52, s52, s53                                    // 000000004038: 81343534
	s_mov_b32 m0, s68                                          // 00000000403C: BEFC0044
	buffer_load_dword v4, s[12:15], s60 offen lds              // 000000004040: E0511000 3C030004
	s_add_u32 m0, 0x880, m0                                    // 000000004048: 807C7CFF 00000880
	buffer_load_dword v5, s[12:15], s60 offen lds              // 000000004050: E0511000 3C030005
	s_add_u32 m0, 0x880, m0                                    // 000000004058: 807C7CFF 00000880
	buffer_load_dword v6, s[12:15], s60 offen lds              // 000000004060: E0511000 3C030006
	s_add_u32 m0, 0x880, m0                                    // 000000004068: 807C7CFF 00000880
	buffer_load_dword v7, s[12:15], s60 offen lds              // 000000004070: E0511000 3C030007
	s_add_u32 m0, 0x880, m0                                    // 000000004078: 807C7CFF 00000880
	s_add_i32 s60, s43, s60                                    // 000000004080: 813C3C2B
	s_waitcnt vmcnt(8)                                         // 000000004084: BF8C0F78
	s_barrier                                                  // 000000004088: BF8A0000
	s_cmp_lt_i32 s39, s38                                      // 00000000408C: BF042627
	s_cbranch_scc0 label_0C0A                                  // 000000004090: BF8408A5
	s_cmp_lt_i32 s5, 4                                         // 000000004094: BF048405
	s_cbranch_scc0 label_07CC                                  // 000000004098: BF840465
	buffer_load_dword v228, v8, s[16:19], s35 offen            // 00000000409C: E0501000 2304E408
	buffer_load_dword v229, v9, s[16:19], s35 offen            // 0000000040A4: E0501000 2304E509
	buffer_load_dword v230, v10, s[16:19], s35 offen           // 0000000040AC: E0501000 2304E60A
	buffer_load_dword v231, v11, s[16:19], s35 offen           // 0000000040B4: E0501000 2304E70B
	s_add_i32 s35, s44, s35                                    // 0000000040BC: 8123232C
	ds_read_b128 v[192:195], v12 offset:8704                   // 0000000040C0: D9FE2200 C000000C
	ds_read_b128 v[196:199], v12 offset:8736                   // 0000000040C8: D9FE2220 C400000C
	ds_read_b128 v[200:203], v12 offset:8768                   // 0000000040D0: D9FE2240 C800000C
	ds_read_b128 v[204:207], v12 offset:8800                   // 0000000040D8: D9FE2260 CC00000C
	ds_read_b128 v[208:211], v12 offset:8832                   // 0000000040E0: D9FE2280 D000000C
	ds_read_b128 v[212:215], v12 offset:8864                   // 0000000040E8: D9FE22A0 D400000C
	ds_read_b128 v[216:219], v12 offset:8896                   // 0000000040F0: D9FE22C0 D800000C
	ds_read_b128 v[220:223], v12 offset:8928                   // 0000000040F8: D9FE22E0 DC00000C
	s_setprio 0                                                // 000000004100: BF8F0000
	s_barrier                                                  // 000000004104: BF8A0000

0000000000004108 <label_0382>:
	s_waitcnt lgkmcnt(0)                                       // 000000004108: BF8CC07F
	v_pk_add_f32 v[16:17], v[96:97], v[96:97]                  // 00000000410C: D3B24010 1802C160
	v_mfma_f32_32x32x8_bf16 v[80:95], v[192:193], v[160:161], 0// 000000004114: D3E00050 020341C0
	v_mfma_f32_32x32x8_bf16 v[80:95], v[194:195], v[162:163], v[80:95]// 00000000411C: D3E00050 054345C2
	v_mfma_f32_32x32x8_bf16 v[80:95], v[196:197], v[164:165], v[80:95]// 000000004124: D3E00050 054349C4
	v_mfma_f32_32x32x8_bf16 v[80:95], v[198:199], v[166:167], v[80:95]// 00000000412C: D3E00050 05434DC6
	v_mfma_f32_32x32x8_bf16 v[80:95], v[200:201], v[168:169], v[80:95]// 000000004134: D3E00050 054351C8
	v_mfma_f32_32x32x8_bf16 v[80:95], v[202:203], v[170:171], v[80:95]// 00000000413C: D3E00050 054355CA
	v_mfma_f32_32x32x8_bf16 v[80:95], v[204:205], v[172:173], v[80:95]// 000000004144: D3E00050 054359CC
	v_mfma_f32_32x32x8_bf16 v[80:95], v[206:207], v[174:175], v[80:95]// 00000000414C: D3E00050 05435DCE
	v_mfma_f32_32x32x8_bf16 v[80:95], v[208:209], v[176:177], v[80:95]// 000000004154: D3E00050 054361D0
	v_mfma_f32_32x32x8_bf16 v[80:95], v[210:211], v[178:179], v[80:95]// 00000000415C: D3E00050 054365D2
	v_mfma_f32_32x32x8_bf16 v[80:95], v[212:213], v[180:181], v[80:95]// 000000004164: D3E00050 054369D4
	v_mfma_f32_32x32x8_bf16 v[80:95], v[214:215], v[182:183], v[80:95]// 00000000416C: D3E00050 05436DD6
	v_mfma_f32_32x32x8_bf16 v[80:95], v[216:217], v[184:185], v[80:95]// 000000004174: D3E00050 054371D8
	v_mfma_f32_32x32x8_bf16 v[80:95], v[218:219], v[186:187], v[80:95]// 00000000417C: D3E00050 054375DA
	v_mfma_f32_32x32x8_bf16 v[80:95], v[220:221], v[188:189], v[80:95]// 000000004184: D3E00050 054379DC
	v_exp_f32_e32 v64, v64                                     // 00000000418C: 7E804140
	v_exp_f32_e32 v65, v65                                     // 000000004190: 7E824141
	v_exp_f32_e32 v66, v66                                     // 000000004194: 7E844142
	v_exp_f32_e32 v67, v67                                     // 000000004198: 7E864143
	v_exp_f32_e32 v68, v68                                     // 00000000419C: 7E884144
	v_exp_f32_e32 v69, v69                                     // 0000000041A0: 7E8A4145
	v_exp_f32_e32 v70, v70                                     // 0000000041A4: 7E8C4146
	v_exp_f32_e32 v71, v71                                     // 0000000041A8: 7E8E4147
	v_exp_f32_e32 v72, v72                                     // 0000000041AC: 7E904148
	v_exp_f32_e32 v73, v73                                     // 0000000041B0: 7E924149
	v_exp_f32_e32 v74, v74                                     // 0000000041B4: 7E94414A
	v_exp_f32_e32 v75, v75                                     // 0000000041B8: 7E96414B
	v_exp_f32_e32 v76, v76                                     // 0000000041BC: 7E98414C
	v_exp_f32_e32 v77, v77                                     // 0000000041C0: 7E9A414D
	v_exp_f32_e32 v78, v78                                     // 0000000041C4: 7E9C414E
	v_exp_f32_e32 v79, v79                                     // 0000000041C8: 7E9E414F
	v_mul_f32_e32 v22, v20, v22                                // 0000000041CC: 0A2C2D14
	v_pk_add_f32 v[38:39], v[64:65], v[66:67]                  // 0000000041D0: D3B24026 18028540
	v_pk_add_f32 v[38:39], v[68:69], v[38:39]                  // 0000000041D8: D3B24026 18024D44
	v_pk_add_f32 v[38:39], v[70:71], v[38:39]                  // 0000000041E0: D3B24026 18024D46
	v_pk_add_f32 v[38:39], v[72:73], v[38:39]                  // 0000000041E8: D3B24026 18024D48
	v_pk_add_f32 v[38:39], v[74:75], v[38:39]                  // 0000000041F0: D3B24026 18024D4A
	v_pk_add_f32 v[38:39], v[76:77], v[38:39]                  // 0000000041F8: D3B24026 18024D4C
	v_pk_add_f32 v[38:39], v[78:79], v[38:39]                  // 000000004200: D3B24026 18024D4E
	v_add_f32_e32 v38, v38, v39                                // 000000004208: 024C4F26
	v_add_f32_e32 v22, v38, v22                                // 00000000420C: 022C2D26
	v_cmp_u_f32_e64 s[70:71], v64, v64                         // 000000004210: D0480046 00028140
	v_bfe_u32 v40, v64, 16, 1                                  // 000000004218: D1C80028 02052140
	v_add3_u32 v40, v64, v40, v43                              // 000000004220: D1FF0028 04AE5140
	v_cndmask_b32_e64 v16, v40, v42, s[70:71]                  // 000000004228: D1000010 011A5528
	v_lshrrev_b32_e32 v16, 16, v16                             // 000000004230: 20202090
	v_cmp_u_f32_e64 s[70:71], v65, v65                         // 000000004234: D0480046 00028341
	v_bfe_u32 v40, v65, 16, 1                                  // 00000000423C: D1C80028 02052141
	v_add3_u32 v40, v65, v40, v43                              // 000000004244: D1FF0028 04AE5141
	v_cndmask_b32_e64 v17, v40, v42, s[70:71]                  // 00000000424C: D1000011 011A5528
	v_and_or_b32 v64, v17, v41, v16                            // 000000004254: D2010040 04425311
	v_cmp_u_f32_e64 s[70:71], v66, v66                         // 00000000425C: D0480046 00028542
	v_bfe_u32 v40, v66, 16, 1                                  // 000000004264: D1C80028 02052142
	v_add3_u32 v40, v66, v40, v43                              // 00000000426C: D1FF0028 04AE5142
	v_cndmask_b32_e64 v16, v40, v42, s[70:71]                  // 000000004274: D1000010 011A5528
	v_lshrrev_b32_e32 v16, 16, v16                             // 00000000427C: 20202090
	v_cmp_u_f32_e64 s[70:71], v67, v67                         // 000000004280: D0480046 00028743
	v_bfe_u32 v40, v67, 16, 1                                  // 000000004288: D1C80028 02052143
	v_add3_u32 v40, v67, v40, v43                              // 000000004290: D1FF0028 04AE5143
	v_cndmask_b32_e64 v17, v40, v42, s[70:71]                  // 000000004298: D1000011 011A5528
	v_and_or_b32 v65, v17, v41, v16                            // 0000000042A0: D2010041 04425311
	v_cmp_u_f32_e64 s[70:71], v68, v68                         // 0000000042A8: D0480046 00028944
	v_bfe_u32 v40, v68, 16, 1                                  // 0000000042B0: D1C80028 02052144
	v_add3_u32 v40, v68, v40, v43                              // 0000000042B8: D1FF0028 04AE5144
	v_cndmask_b32_e64 v16, v40, v42, s[70:71]                  // 0000000042C0: D1000010 011A5528
	v_lshrrev_b32_e32 v16, 16, v16                             // 0000000042C8: 20202090
	v_cmp_u_f32_e64 s[70:71], v69, v69                         // 0000000042CC: D0480046 00028B45
	v_bfe_u32 v40, v69, 16, 1                                  // 0000000042D4: D1C80028 02052145
	v_add3_u32 v40, v69, v40, v43                              // 0000000042DC: D1FF0028 04AE5145
	v_cndmask_b32_e64 v17, v40, v42, s[70:71]                  // 0000000042E4: D1000011 011A5528
	v_and_or_b32 v66, v17, v41, v16                            // 0000000042EC: D2010042 04425311
	v_cmp_u_f32_e64 s[70:71], v70, v70                         // 0000000042F4: D0480046 00028D46
	v_bfe_u32 v40, v70, 16, 1                                  // 0000000042FC: D1C80028 02052146
	v_add3_u32 v40, v70, v40, v43                              // 000000004304: D1FF0028 04AE5146
	v_cndmask_b32_e64 v16, v40, v42, s[70:71]                  // 00000000430C: D1000010 011A5528
	v_lshrrev_b32_e32 v16, 16, v16                             // 000000004314: 20202090
	v_cmp_u_f32_e64 s[70:71], v71, v71                         // 000000004318: D0480046 00028F47
	v_bfe_u32 v40, v71, 16, 1                                  // 000000004320: D1C80028 02052147
	v_add3_u32 v40, v71, v40, v43                              // 000000004328: D1FF0028 04AE5147
	v_cndmask_b32_e64 v17, v40, v42, s[70:71]                  // 000000004330: D1000011 011A5528
	v_and_or_b32 v67, v17, v41, v16                            // 000000004338: D2010043 04425311
	v_cmp_u_f32_e64 s[70:71], v72, v72                         // 000000004340: D0480046 00029148
	v_bfe_u32 v40, v72, 16, 1                                  // 000000004348: D1C80028 02052148
	v_add3_u32 v40, v72, v40, v43                              // 000000004350: D1FF0028 04AE5148
	v_cndmask_b32_e64 v16, v40, v42, s[70:71]                  // 000000004358: D1000010 011A5528
	v_lshrrev_b32_e32 v16, 16, v16                             // 000000004360: 20202090
	v_cmp_u_f32_e64 s[70:71], v73, v73                         // 000000004364: D0480046 00029349
	v_bfe_u32 v40, v73, 16, 1                                  // 00000000436C: D1C80028 02052149
	v_add3_u32 v40, v73, v40, v43                              // 000000004374: D1FF0028 04AE5149
	v_cndmask_b32_e64 v17, v40, v42, s[70:71]                  // 00000000437C: D1000011 011A5528
	v_and_or_b32 v68, v17, v41, v16                            // 000000004384: D2010044 04425311
	v_cmp_u_f32_e64 s[70:71], v74, v74                         // 00000000438C: D0480046 0002954A
	v_bfe_u32 v40, v74, 16, 1                                  // 000000004394: D1C80028 0205214A
	v_add3_u32 v40, v74, v40, v43                              // 00000000439C: D1FF0028 04AE514A
	v_cndmask_b32_e64 v16, v40, v42, s[70:71]                  // 0000000043A4: D1000010 011A5528
	v_lshrrev_b32_e32 v16, 16, v16                             // 0000000043AC: 20202090
	v_cmp_u_f32_e64 s[70:71], v75, v75                         // 0000000043B0: D0480046 0002974B
	v_bfe_u32 v40, v75, 16, 1                                  // 0000000043B8: D1C80028 0205214B
	v_add3_u32 v40, v75, v40, v43                              // 0000000043C0: D1FF0028 04AE514B
	v_cndmask_b32_e64 v17, v40, v42, s[70:71]                  // 0000000043C8: D1000011 011A5528
	v_and_or_b32 v69, v17, v41, v16                            // 0000000043D0: D2010045 04425311
	v_cmp_u_f32_e64 s[70:71], v76, v76                         // 0000000043D8: D0480046 0002994C
	v_bfe_u32 v40, v76, 16, 1                                  // 0000000043E0: D1C80028 0205214C
	v_add3_u32 v40, v76, v40, v43                              // 0000000043E8: D1FF0028 04AE514C
	v_cndmask_b32_e64 v16, v40, v42, s[70:71]                  // 0000000043F0: D1000010 011A5528
	v_lshrrev_b32_e32 v16, 16, v16                             // 0000000043F8: 20202090
	v_cmp_u_f32_e64 s[70:71], v77, v77                         // 0000000043FC: D0480046 00029B4D
	v_bfe_u32 v40, v77, 16, 1                                  // 000000004404: D1C80028 0205214D
	v_add3_u32 v40, v77, v40, v43                              // 00000000440C: D1FF0028 04AE514D
	v_cndmask_b32_e64 v17, v40, v42, s[70:71]                  // 000000004414: D1000011 011A5528
	v_and_or_b32 v70, v17, v41, v16                            // 00000000441C: D2010046 04425311
	v_cmp_u_f32_e64 s[70:71], v78, v78                         // 000000004424: D0480046 00029D4E
	v_bfe_u32 v40, v78, 16, 1                                  // 00000000442C: D1C80028 0205214E
	v_add3_u32 v40, v78, v40, v43                              // 000000004434: D1FF0028 04AE514E
	v_cndmask_b32_e64 v16, v40, v42, s[70:71]                  // 00000000443C: D1000010 011A5528
	v_lshrrev_b32_e32 v16, 16, v16                             // 000000004444: 20202090
	v_cmp_u_f32_e64 s[70:71], v79, v79                         // 000000004448: D0480046 00029F4F
	v_bfe_u32 v40, v79, 16, 1                                  // 000000004450: D1C80028 0205214F
	v_add3_u32 v40, v79, v40, v43                              // 000000004458: D1FF0028 04AE514F
	v_cndmask_b32_e64 v17, v40, v42, s[70:71]                  // 000000004460: D1000011 011A5528
	v_and_or_b32 v71, v17, v41, v16                            // 000000004468: D2010047 04425311
	v_mfma_f32_32x32x8_bf16 v[80:95], v[222:223], v[190:191], v[80:95]// 000000004470: D3E00050 05437DDE
	s_waitcnt vmcnt(8)                                         // 000000004478: BF8C0F78
	s_barrier                                                  // 00000000447C: BF8A0000
	v_perm_b32 v232, v225, v224, s50                           // 000000004480: D1ED00E8 00CBC1E1
	v_perm_b32 v234, v225, v224, s49                           // 000000004488: D1ED00EA 00C7C1E1
	v_perm_b32 v233, v227, v226, s50                           // 000000004490: D1ED00E9 00CBC5E3
	v_perm_b32 v235, v227, v226, s49                           // 000000004498: D1ED00EB 00C7C5E3
	ds_write_b64 v14, v[232:233] offset:17408                  // 0000000044A0: D89A4400 0000E80E
	ds_write_b64 v14, v[234:235] offset:21568                  // 0000000044A8: D89A5440 0000EA0E
	s_waitcnt lgkmcnt(0)                                       // 0000000044B0: BF8CC07F
	s_barrier                                                  // 0000000044B4: BF8A0000
	s_mov_b32 m0, s69                                          // 0000000044B8: BEFC0045
	buffer_load_dword v4, s[12:15], s60 offen lds              // 0000000044BC: E0511000 3C030004
	s_add_u32 m0, 0x880, m0                                    // 0000000044C4: 807C7CFF 00000880
	buffer_load_dword v5, s[12:15], s60 offen lds              // 0000000044CC: E0511000 3C030005
	s_add_u32 m0, 0x880, m0                                    // 0000000044D4: 807C7CFF 00000880
	buffer_load_dword v6, s[12:15], s60 offen lds              // 0000000044DC: E0511000 3C030006
	s_add_u32 m0, 0x880, m0                                    // 0000000044E4: 807C7CFF 00000880
	buffer_load_dword v7, s[12:15], s60 offen lds              // 0000000044EC: E0511000 3C030007
	s_add_u32 m0, 0x880, m0                                    // 0000000044F4: 807C7CFF 00000880
	s_add_i32 s60, s43, s60                                    // 0000000044FC: 813C3C2B
	s_nop 0                                                    // 000000004500: BF800000
	s_add_u32 s40, 0x80, s39                                   // 000000004504: 802827FF 00000080
	s_nop 0                                                    // 00000000450C: BF800000
	s_cmp_lt_u32 s40, s38                                      // 000000004510: BF0A2628
	s_cselect_b32 s43, s43, 0                                  // 000000004514: 852B802B
	ds_read_b64 v[192:193], v13 offset:17408                   // 000000004518: D8EC4400 C000000D
	ds_read_b64 v[194:195], v13 offset:18432                   // 000000004520: D8EC4800 C200000D
	ds_read_b64 v[196:197], v13 offset:19456                   // 000000004528: D8EC4C00 C400000D
	ds_read_b64 v[198:199], v13 offset:20480                   // 000000004530: D8EC5000 C600000D
	ds_read_b64 v[200:201], v13 offset:17536                   // 000000004538: D8EC4480 C800000D
	ds_read_b64 v[202:203], v13 offset:18560                   // 000000004540: D8EC4880 CA00000D
	ds_read_b64 v[204:205], v13 offset:19584                   // 000000004548: D8EC4C80 CC00000D
	ds_read_b64 v[206:207], v13 offset:20608                   // 000000004550: D8EC5080 CE00000D
	ds_read_b64 v[208:209], v13 offset:17664                   // 000000004558: D8EC4500 D000000D
	ds_read_b64 v[210:211], v13 offset:18688                   // 000000004560: D8EC4900 D200000D
	ds_read_b64 v[212:213], v13 offset:19712                   // 000000004568: D8EC4D00 D400000D
	ds_read_b64 v[214:215], v13 offset:20736                   // 000000004570: D8EC5100 D600000D
	ds_read_b64 v[216:217], v13 offset:17792                   // 000000004578: D8EC4580 D800000D
	ds_read_b64 v[218:219], v13 offset:18816                   // 000000004580: D8EC4980 DA00000D
	ds_read_b64 v[220:221], v13 offset:19840                   // 000000004588: D8EC4D80 DC00000D
	ds_read_b64 v[222:223], v13 offset:20864                   // 000000004590: D8EC5180 DE00000D
	s_nop 0                                                    // 000000004598: BF800000
	s_cmp_lt_i32 s52, s54                                      // 00000000459C: BF043634
	s_cbranch_scc1 label_04EC                                  // 0000000045A0: BF850043
	s_sub_i32 s40, s7, s52                                     // 0000000045A4: 81A83407
	v_sub_i32 v16, s40, v30                                    // 0000000045A8: D29D0010 00023C28
	v_cmp_lt_i32_e64 s[72:73], 0, v16                          // 0000000045B0: D0C10048 00022080
	v_cmp_lt_i32_e64 s[74:75], 1, v16                          // 0000000045B8: D0C1004A 00022081
	v_cndmask_b32_e64 v80, v31, v80, s[72:73]                  // 0000000045C0: D1000050 0122A11F
	v_cndmask_b32_e64 v81, v31, v81, s[74:75]                  // 0000000045C8: D1000051 012AA31F
	v_cmp_lt_i32_e64 s[72:73], 2, v16                          // 0000000045D0: D0C10048 00022082
	v_cmp_lt_i32_e64 s[74:75], 3, v16                          // 0000000045D8: D0C1004A 00022083
	v_cndmask_b32_e64 v82, v31, v82, s[72:73]                  // 0000000045E0: D1000052 0122A51F
	v_cndmask_b32_e64 v83, v31, v83, s[74:75]                  // 0000000045E8: D1000053 012AA71F
	v_cmp_lt_i32_e64 s[72:73], 8, v16                          // 0000000045F0: D0C10048 00022088
	v_cmp_lt_i32_e64 s[74:75], 9, v16                          // 0000000045F8: D0C1004A 00022089
	v_cndmask_b32_e64 v84, v31, v84, s[72:73]                  // 000000004600: D1000054 0122A91F
	v_cndmask_b32_e64 v85, v31, v85, s[74:75]                  // 000000004608: D1000055 012AAB1F
	v_cmp_lt_i32_e64 s[72:73], 10, v16                         // 000000004610: D0C10048 0002208A
	v_cmp_lt_i32_e64 s[74:75], 11, v16                         // 000000004618: D0C1004A 0002208B
	v_cndmask_b32_e64 v86, v31, v86, s[72:73]                  // 000000004620: D1000056 0122AD1F
	v_cndmask_b32_e64 v87, v31, v87, s[74:75]                  // 000000004628: D1000057 012AAF1F
	v_cmp_lt_i32_e64 s[72:73], 16, v16                         // 000000004630: D0C10048 00022090
	v_cmp_lt_i32_e64 s[74:75], 17, v16                         // 000000004638: D0C1004A 00022091
	v_cndmask_b32_e64 v88, v31, v88, s[72:73]                  // 000000004640: D1000058 0122B11F
	v_cndmask_b32_e64 v89, v31, v89, s[74:75]                  // 000000004648: D1000059 012AB31F
	v_cmp_lt_i32_e64 s[72:73], 18, v16                         // 000000004650: D0C10048 00022092
	v_cmp_lt_i32_e64 s[74:75], 19, v16                         // 000000004658: D0C1004A 00022093
	v_cndmask_b32_e64 v90, v31, v90, s[72:73]                  // 000000004660: D100005A 0122B51F
	v_cndmask_b32_e64 v91, v31, v91, s[74:75]                  // 000000004668: D100005B 012AB71F
	v_cmp_lt_i32_e64 s[72:73], 24, v16                         // 000000004670: D0C10048 00022098
	v_cmp_lt_i32_e64 s[74:75], 25, v16                         // 000000004678: D0C1004A 00022099
	v_cndmask_b32_e64 v92, v31, v92, s[72:73]                  // 000000004680: D100005C 0122B91F
	v_cndmask_b32_e64 v93, v31, v93, s[74:75]                  // 000000004688: D100005D 012ABB1F
	v_cmp_lt_i32_e64 s[72:73], 26, v16                         // 000000004690: D0C10048 0002209A
	v_cmp_lt_i32_e64 s[74:75], 27, v16                         // 000000004698: D0C1004A 0002209B
	v_cndmask_b32_e64 v94, v31, v94, s[72:73]                  // 0000000046A0: D100005E 0122BD1F
	v_cndmask_b32_e64 v95, v31, v95, s[74:75]                  // 0000000046A8: D100005F 012ABF1F

00000000000046b0 <label_04EC>:
	s_waitcnt lgkmcnt(0)                                       // 0000000046B0: BF8CC07F
	s_barrier                                                  // 0000000046B4: BF8A0000
	v_max3_f32 v25, v80, v81, v28                              // 0000000046B8: D1D30019 0472A350
	v_max3_f32 v25, v82, v83, v25                              // 0000000046C0: D1D30019 0466A752
	v_max3_f32 v25, v84, v85, v25                              // 0000000046C8: D1D30019 0466AB54
	v_max3_f32 v25, v86, v87, v25                              // 0000000046D0: D1D30019 0466AF56
	v_max3_f32 v25, v88, v89, v25                              // 0000000046D8: D1D30019 0466B358
	v_max3_f32 v25, v90, v91, v25                              // 0000000046E0: D1D30019 0466B75A
	v_max3_f32 v25, v92, v93, v25                              // 0000000046E8: D1D30019 0466BB5C
	v_max3_f32 v25, v94, v95, v25                              // 0000000046F0: D1D30019 0466BF5E
	v_mfma_f32_32x32x8_bf16 v[96:111], v[192:193], v[64:65], v[96:111]// 0000000046F8: D3E00060 058281C0
	ds_permute_b32 v24, v32, v25                               // 000000004700: D87C0000 18001920
	v_mfma_f32_32x32x8_bf16 v[96:111], v[194:195], v[66:67], v[96:111]// 000000004708: D3E00060 058285C2
	v_mfma_f32_32x32x8_bf16 v[96:111], v[196:197], v[68:69], v[96:111]// 000000004710: D3E00060 058289C4
	v_mfma_f32_32x32x8_bf16 v[96:111], v[198:199], v[70:71], v[96:111]// 000000004718: D3E00060 05828DC6
	v_mfma_f32_32x32x8_bf16 v[112:127], v[200:201], v[64:65], v[112:127]// 000000004720: D3E00070 05C281C8
	v_mfma_f32_32x32x8_bf16 v[112:127], v[202:203], v[66:67], v[112:127]// 000000004728: D3E00070 05C285CA
	v_mfma_f32_32x32x8_bf16 v[112:127], v[204:205], v[68:69], v[112:127]// 000000004730: D3E00070 05C289CC
	v_mfma_f32_32x32x8_bf16 v[112:127], v[206:207], v[70:71], v[112:127]// 000000004738: D3E00070 05C28DCE
	v_mfma_f32_32x32x8_bf16 v[128:143], v[208:209], v[64:65], v[128:143]// 000000004740: D3E00080 060281D0
	s_waitcnt lgkmcnt(0)                                       // 000000004748: BF8CC07F
	v_mfma_f32_32x32x8_bf16 v[128:143], v[210:211], v[66:67], v[128:143]// 00000000474C: D3E00080 060285D2
	v_mfma_f32_32x32x8_bf16 v[128:143], v[212:213], v[68:69], v[128:143]// 000000004754: D3E00080 060289D4
	v_mfma_f32_32x32x8_bf16 v[128:143], v[214:215], v[70:71], v[128:143]// 00000000475C: D3E00080 06028DD6
	v_mfma_f32_32x32x8_bf16 v[144:159], v[216:217], v[64:65], v[144:159]// 000000004764: D3E00090 064281D8
	v_mfma_f32_32x32x8_bf16 v[144:159], v[218:219], v[66:67], v[144:159]// 00000000476C: D3E00090 064285DA
	v_mfma_f32_32x32x8_bf16 v[144:159], v[220:221], v[68:69], v[144:159]// 000000004774: D3E00090 064289DC
	v_max_f32_e32 v25, v24, v25                                // 00000000477C: 16323318
	v_sub_f32_e32 v20, v28, v25                                // 000000004780: 0428331C
	v_mov_b32_e32 v28, v25                                     // 000000004784: 7E380319
	v_mul_f32_e32 v27, s56, v25                                // 000000004788: 0A363238
	v_mul_f32_e32 v20, s56, v20                                // 00000000478C: 0A282838
	v_exp_f32_e32 v20, v20                                     // 000000004790: 7E284114
	v_add_f32_e64 v36, 0, -v27                                 // 000000004794: D1010024 40023680
	v_mov_b32_e32 v37, v36                                     // 00000000479C: 7E4A0324
	v_pk_fma_f32 v[80:81], v[80:81], s[56:57], v[36:37]        // 0000000047A0: D3B04050 1C907150
	v_pk_fma_f32 v[82:83], v[82:83], s[56:57], v[36:37]        // 0000000047A8: D3B04052 1C907152
	v_pk_fma_f32 v[84:85], v[84:85], s[56:57], v[36:37]        // 0000000047B0: D3B04054 1C907154
	v_pk_fma_f32 v[86:87], v[86:87], s[56:57], v[36:37]        // 0000000047B8: D3B04056 1C907156
	v_pk_fma_f32 v[88:89], v[88:89], s[56:57], v[36:37]        // 0000000047C0: D3B04058 1C907158
	v_pk_fma_f32 v[90:91], v[90:91], s[56:57], v[36:37]        // 0000000047C8: D3B0405A 1C90715A
	v_pk_fma_f32 v[92:93], v[92:93], s[56:57], v[36:37]        // 0000000047D0: D3B0405C 1C90715C
	v_pk_fma_f32 v[94:95], v[94:95], s[56:57], v[36:37]        // 0000000047D8: D3B0405E 1C90715E
	v_mfma_f32_32x32x8_bf16 v[144:159], v[222:223], v[70:71], v[144:159]// 0000000047E0: D3E00090 06428DDE
	s_setprio 1                                                // 0000000047E8: BF8F0001
	s_waitcnt vmcnt(8)                                         // 0000000047EC: BF8C0F78
	s_barrier                                                  // 0000000047F0: BF8A0000
	v_mov_b32_e32 v21, v20                                     // 0000000047F4: 7E2A0314
	v_mul_f32_e32 v96, v20, v96                                // 0000000047F8: 0AC0C114
	v_mul_f32_e32 v97, v20, v97                                // 0000000047FC: 0AC2C314
	v_pk_mul_f32 v[98:99], v[20:21], v[98:99]                  // 000000004800: D3B14062 1802C514
	v_pk_mul_f32 v[100:101], v[20:21], v[100:101]              // 000000004808: D3B14064 1802C914
	v_pk_mul_f32 v[102:103], v[20:21], v[102:103]              // 000000004810: D3B14066 1802CD14
	v_pk_mul_f32 v[104:105], v[20:21], v[104:105]              // 000000004818: D3B14068 1802D114
	v_pk_mul_f32 v[106:107], v[20:21], v[106:107]              // 000000004820: D3B1406A 1802D514
	v_pk_mul_f32 v[108:109], v[20:21], v[108:109]              // 000000004828: D3B1406C 1802D914
	v_pk_mul_f32 v[110:111], v[20:21], v[110:111]              // 000000004830: D3B1406E 1802DD14
	v_pk_mul_f32 v[112:113], v[20:21], v[112:113]              // 000000004838: D3B14070 1802E114
	v_pk_mul_f32 v[114:115], v[20:21], v[114:115]              // 000000004840: D3B14072 1802E514
	v_pk_mul_f32 v[116:117], v[20:21], v[116:117]              // 000000004848: D3B14074 1802E914
	v_pk_mul_f32 v[118:119], v[20:21], v[118:119]              // 000000004850: D3B14076 1802ED14
	v_pk_mul_f32 v[120:121], v[20:21], v[120:121]              // 000000004858: D3B14078 1802F114
	v_pk_mul_f32 v[122:123], v[20:21], v[122:123]              // 000000004860: D3B1407A 1802F514
	v_pk_mul_f32 v[124:125], v[20:21], v[124:125]              // 000000004868: D3B1407C 1802F914
	v_pk_mul_f32 v[126:127], v[20:21], v[126:127]              // 000000004870: D3B1407E 1802FD14
	v_pk_mul_f32 v[128:129], v[20:21], v[128:129]              // 000000004878: D3B14080 18030114
	v_pk_mul_f32 v[130:131], v[20:21], v[130:131]              // 000000004880: D3B14082 18030514
	v_pk_mul_f32 v[132:133], v[20:21], v[132:133]              // 000000004888: D3B14084 18030914
	v_pk_mul_f32 v[134:135], v[20:21], v[134:135]              // 000000004890: D3B14086 18030D14
	v_pk_mul_f32 v[136:137], v[20:21], v[136:137]              // 000000004898: D3B14088 18031114
	v_pk_mul_f32 v[138:139], v[20:21], v[138:139]              // 0000000048A0: D3B1408A 18031514
	v_pk_mul_f32 v[140:141], v[20:21], v[140:141]              // 0000000048A8: D3B1408C 18031914
	v_pk_mul_f32 v[142:143], v[20:21], v[142:143]              // 0000000048B0: D3B1408E 18031D14
	v_pk_mul_f32 v[144:145], v[20:21], v[144:145]              // 0000000048B8: D3B14090 18032114
	v_pk_mul_f32 v[146:147], v[20:21], v[146:147]              // 0000000048C0: D3B14092 18032514
	v_pk_mul_f32 v[148:149], v[20:21], v[148:149]              // 0000000048C8: D3B14094 18032914
	v_pk_mul_f32 v[150:151], v[20:21], v[150:151]              // 0000000048D0: D3B14096 18032D14
	v_pk_mul_f32 v[152:153], v[20:21], v[152:153]              // 0000000048D8: D3B14098 18033114
	v_pk_mul_f32 v[154:155], v[20:21], v[154:155]              // 0000000048E0: D3B1409A 18033514
	v_pk_mul_f32 v[156:157], v[20:21], v[156:157]              // 0000000048E8: D3B1409C 18033914
	v_pk_mul_f32 v[158:159], v[20:21], v[158:159]              // 0000000048F0: D3B1409E 18033D14
	s_setprio 0                                                // 0000000048F8: BF8F0000
	s_nop 15                                                   // 0000000048FC: BF80000F
	s_nop 7                                                    // 000000004900: BF800007
	buffer_load_dword v224, v8, s[16:19], s35 offen            // 000000004904: E0501000 2304E008
	buffer_load_dword v225, v9, s[16:19], s35 offen            // 00000000490C: E0501000 2304E109
	buffer_load_dword v226, v10, s[16:19], s35 offen           // 000000004914: E0501000 2304E20A
	buffer_load_dword v227, v11, s[16:19], s35 offen           // 00000000491C: E0501000 2304E30B
	s_add_i32 s35, s44, s35                                    // 000000004924: 8123232C
	s_nop 0                                                    // 000000004928: BF800000
	s_add_u32 s40, 0x60, s39                                   // 00000000492C: 802827FF 00000060
	s_nop 0                                                    // 000000004934: BF800000
	s_cmp_lt_u32 s40, s38                                      // 000000004938: BF0A2628
	s_cselect_b32 s44, s44, 0                                  // 00000000493C: 852C802C
	s_nop 0                                                    // 000000004940: BF800000
	ds_read_b128 v[192:195], v12                               // 000000004944: D9FE0000 C000000C
	ds_read_b128 v[196:199], v12 offset:32                     // 00000000494C: D9FE0020 C400000C
	ds_read_b128 v[200:203], v12 offset:64                     // 000000004954: D9FE0040 C800000C
	ds_read_b128 v[204:207], v12 offset:96                     // 00000000495C: D9FE0060 CC00000C
	ds_read_b128 v[208:211], v12 offset:128                    // 000000004964: D9FE0080 D000000C
	ds_read_b128 v[212:215], v12 offset:160                    // 00000000496C: D9FE00A0 D400000C
	ds_read_b128 v[216:219], v12 offset:192                    // 000000004974: D9FE00C0 D800000C
	ds_read_b128 v[220:223], v12 offset:224                    // 00000000497C: D9FE00E0 DC00000C
	s_add_i32 s52, s52, s53                                    // 000000004984: 81343534
	s_addk_i32 s39, 0x20                                       // 000000004988: B7270020
	s_cmp_lt_i32 s39, s38                                      // 00000000498C: BF042627
	s_nop 0                                                    // 000000004990: BF800000
	s_cbranch_scc0 label_0C0A                                  // 000000004994: BF840664
	s_waitcnt lgkmcnt(0)                                       // 000000004998: BF8CC07F
	v_pk_add_f32 v[16:17], v[96:97], v[96:97]                  // 00000000499C: D3B24010 1802C160
	v_mfma_f32_32x32x8_bf16 v[64:79], v[192:193], v[160:161], 0// 0000000049A4: D3E00040 020341C0
	v_mfma_f32_32x32x8_bf16 v[64:79], v[194:195], v[162:163], v[64:79]// 0000000049AC: D3E00040 050345C2
	v_mfma_f32_32x32x8_bf16 v[64:79], v[196:197], v[164:165], v[64:79]// 0000000049B4: D3E00040 050349C4
	v_mfma_f32_32x32x8_bf16 v[64:79], v[198:199], v[166:167], v[64:79]// 0000000049BC: D3E00040 05034DC6
	v_mfma_f32_32x32x8_bf16 v[64:79], v[200:201], v[168:169], v[64:79]// 0000000049C4: D3E00040 050351C8
	v_mfma_f32_32x32x8_bf16 v[64:79], v[202:203], v[170:171], v[64:79]// 0000000049CC: D3E00040 050355CA
	v_mfma_f32_32x32x8_bf16 v[64:79], v[204:205], v[172:173], v[64:79]// 0000000049D4: D3E00040 050359CC
	v_mfma_f32_32x32x8_bf16 v[64:79], v[206:207], v[174:175], v[64:79]// 0000000049DC: D3E00040 05035DCE
	v_mfma_f32_32x32x8_bf16 v[64:79], v[208:209], v[176:177], v[64:79]// 0000000049E4: D3E00040 050361D0
	v_mfma_f32_32x32x8_bf16 v[64:79], v[210:211], v[178:179], v[64:79]// 0000000049EC: D3E00040 050365D2
	v_mfma_f32_32x32x8_bf16 v[64:79], v[212:213], v[180:181], v[64:79]// 0000000049F4: D3E00040 050369D4
	v_mfma_f32_32x32x8_bf16 v[64:79], v[214:215], v[182:183], v[64:79]// 0000000049FC: D3E00040 05036DD6
	v_mfma_f32_32x32x8_bf16 v[64:79], v[216:217], v[184:185], v[64:79]// 000000004A04: D3E00040 050371D8
	v_mfma_f32_32x32x8_bf16 v[64:79], v[218:219], v[186:187], v[64:79]// 000000004A0C: D3E00040 050375DA
	v_mfma_f32_32x32x8_bf16 v[64:79], v[220:221], v[188:189], v[64:79]// 000000004A14: D3E00040 050379DC
	v_exp_f32_e32 v80, v80                                     // 000000004A1C: 7EA04150
	v_exp_f32_e32 v81, v81                                     // 000000004A20: 7EA24151
	v_exp_f32_e32 v82, v82                                     // 000000004A24: 7EA44152
	v_exp_f32_e32 v83, v83                                     // 000000004A28: 7EA64153
	v_exp_f32_e32 v84, v84                                     // 000000004A2C: 7EA84154
	v_exp_f32_e32 v85, v85                                     // 000000004A30: 7EAA4155
	v_exp_f32_e32 v86, v86                                     // 000000004A34: 7EAC4156
	v_exp_f32_e32 v87, v87                                     // 000000004A38: 7EAE4157
	v_exp_f32_e32 v88, v88                                     // 000000004A3C: 7EB04158
	v_exp_f32_e32 v89, v89                                     // 000000004A40: 7EB24159
	v_exp_f32_e32 v90, v90                                     // 000000004A44: 7EB4415A
	v_exp_f32_e32 v91, v91                                     // 000000004A48: 7EB6415B
	v_exp_f32_e32 v92, v92                                     // 000000004A4C: 7EB8415C
	v_exp_f32_e32 v93, v93                                     // 000000004A50: 7EBA415D
	v_exp_f32_e32 v94, v94                                     // 000000004A54: 7EBC415E
	v_exp_f32_e32 v95, v95                                     // 000000004A58: 7EBE415F
	v_mul_f32_e32 v22, v20, v22                                // 000000004A5C: 0A2C2D14
	v_pk_add_f32 v[38:39], v[80:81], v[82:83]                  // 000000004A60: D3B24026 1802A550
	v_pk_add_f32 v[38:39], v[84:85], v[38:39]                  // 000000004A68: D3B24026 18024D54
	v_pk_add_f32 v[38:39], v[86:87], v[38:39]                  // 000000004A70: D3B24026 18024D56
	v_pk_add_f32 v[38:39], v[88:89], v[38:39]                  // 000000004A78: D3B24026 18024D58
	v_pk_add_f32 v[38:39], v[90:91], v[38:39]                  // 000000004A80: D3B24026 18024D5A
	v_pk_add_f32 v[38:39], v[92:93], v[38:39]                  // 000000004A88: D3B24026 18024D5C
	v_pk_add_f32 v[38:39], v[94:95], v[38:39]                  // 000000004A90: D3B24026 18024D5E
	v_add_f32_e32 v38, v38, v39                                // 000000004A98: 024C4F26
	v_add_f32_e32 v22, v38, v22                                // 000000004A9C: 022C2D26
	v_cmp_u_f32_e64 s[70:71], v80, v80                         // 000000004AA0: D0480046 0002A150
	v_bfe_u32 v40, v80, 16, 1                                  // 000000004AA8: D1C80028 02052150
	v_add3_u32 v40, v80, v40, v43                              // 000000004AB0: D1FF0028 04AE5150
	v_cndmask_b32_e64 v16, v40, v42, s[70:71]                  // 000000004AB8: D1000010 011A5528
	v_lshrrev_b32_e32 v16, 16, v16                             // 000000004AC0: 20202090
	v_cmp_u_f32_e64 s[70:71], v81, v81                         // 000000004AC4: D0480046 0002A351
	v_bfe_u32 v40, v81, 16, 1                                  // 000000004ACC: D1C80028 02052151
	v_add3_u32 v40, v81, v40, v43                              // 000000004AD4: D1FF0028 04AE5151
	v_cndmask_b32_e64 v17, v40, v42, s[70:71]                  // 000000004ADC: D1000011 011A5528
	v_and_or_b32 v80, v17, v41, v16                            // 000000004AE4: D2010050 04425311
	v_cmp_u_f32_e64 s[70:71], v82, v82                         // 000000004AEC: D0480046 0002A552
	v_bfe_u32 v40, v82, 16, 1                                  // 000000004AF4: D1C80028 02052152
	v_add3_u32 v40, v82, v40, v43                              // 000000004AFC: D1FF0028 04AE5152
	v_cndmask_b32_e64 v16, v40, v42, s[70:71]                  // 000000004B04: D1000010 011A5528
	v_lshrrev_b32_e32 v16, 16, v16                             // 000000004B0C: 20202090
	v_cmp_u_f32_e64 s[70:71], v83, v83                         // 000000004B10: D0480046 0002A753
	v_bfe_u32 v40, v83, 16, 1                                  // 000000004B18: D1C80028 02052153
	v_add3_u32 v40, v83, v40, v43                              // 000000004B20: D1FF0028 04AE5153
	v_cndmask_b32_e64 v17, v40, v42, s[70:71]                  // 000000004B28: D1000011 011A5528
	v_and_or_b32 v81, v17, v41, v16                            // 000000004B30: D2010051 04425311
	v_cmp_u_f32_e64 s[70:71], v84, v84                         // 000000004B38: D0480046 0002A954
	v_bfe_u32 v40, v84, 16, 1                                  // 000000004B40: D1C80028 02052154
	v_add3_u32 v40, v84, v40, v43                              // 000000004B48: D1FF0028 04AE5154
	v_cndmask_b32_e64 v16, v40, v42, s[70:71]                  // 000000004B50: D1000010 011A5528
	v_lshrrev_b32_e32 v16, 16, v16                             // 000000004B58: 20202090
	v_cmp_u_f32_e64 s[70:71], v85, v85                         // 000000004B5C: D0480046 0002AB55
	v_bfe_u32 v40, v85, 16, 1                                  // 000000004B64: D1C80028 02052155
	v_add3_u32 v40, v85, v40, v43                              // 000000004B6C: D1FF0028 04AE5155
	v_cndmask_b32_e64 v17, v40, v42, s[70:71]                  // 000000004B74: D1000011 011A5528
	v_and_or_b32 v82, v17, v41, v16                            // 000000004B7C: D2010052 04425311
	v_cmp_u_f32_e64 s[70:71], v86, v86                         // 000000004B84: D0480046 0002AD56
	v_bfe_u32 v40, v86, 16, 1                                  // 000000004B8C: D1C80028 02052156
	v_add3_u32 v40, v86, v40, v43                              // 000000004B94: D1FF0028 04AE5156
	v_cndmask_b32_e64 v16, v40, v42, s[70:71]                  // 000000004B9C: D1000010 011A5528
	v_lshrrev_b32_e32 v16, 16, v16                             // 000000004BA4: 20202090
	v_cmp_u_f32_e64 s[70:71], v87, v87                         // 000000004BA8: D0480046 0002AF57
	v_bfe_u32 v40, v87, 16, 1                                  // 000000004BB0: D1C80028 02052157
	v_add3_u32 v40, v87, v40, v43                              // 000000004BB8: D1FF0028 04AE5157
	v_cndmask_b32_e64 v17, v40, v42, s[70:71]                  // 000000004BC0: D1000011 011A5528
	v_and_or_b32 v83, v17, v41, v16                            // 000000004BC8: D2010053 04425311
	v_cmp_u_f32_e64 s[70:71], v88, v88                         // 000000004BD0: D0480046 0002B158
	v_bfe_u32 v40, v88, 16, 1                                  // 000000004BD8: D1C80028 02052158
	v_add3_u32 v40, v88, v40, v43                              // 000000004BE0: D1FF0028 04AE5158
	v_cndmask_b32_e64 v16, v40, v42, s[70:71]                  // 000000004BE8: D1000010 011A5528
	v_lshrrev_b32_e32 v16, 16, v16                             // 000000004BF0: 20202090
	v_cmp_u_f32_e64 s[70:71], v89, v89                         // 000000004BF4: D0480046 0002B359
	v_bfe_u32 v40, v89, 16, 1                                  // 000000004BFC: D1C80028 02052159
	v_add3_u32 v40, v89, v40, v43                              // 000000004C04: D1FF0028 04AE5159
	v_cndmask_b32_e64 v17, v40, v42, s[70:71]                  // 000000004C0C: D1000011 011A5528
	v_and_or_b32 v84, v17, v41, v16                            // 000000004C14: D2010054 04425311
	v_cmp_u_f32_e64 s[70:71], v90, v90                         // 000000004C1C: D0480046 0002B55A
	v_bfe_u32 v40, v90, 16, 1                                  // 000000004C24: D1C80028 0205215A
	v_add3_u32 v40, v90, v40, v43                              // 000000004C2C: D1FF0028 04AE515A
	v_cndmask_b32_e64 v16, v40, v42, s[70:71]                  // 000000004C34: D1000010 011A5528
	v_lshrrev_b32_e32 v16, 16, v16                             // 000000004C3C: 20202090
	v_cmp_u_f32_e64 s[70:71], v91, v91                         // 000000004C40: D0480046 0002B75B
	v_bfe_u32 v40, v91, 16, 1                                  // 000000004C48: D1C80028 0205215B
	v_add3_u32 v40, v91, v40, v43                              // 000000004C50: D1FF0028 04AE515B
	v_cndmask_b32_e64 v17, v40, v42, s[70:71]                  // 000000004C58: D1000011 011A5528
	v_and_or_b32 v85, v17, v41, v16                            // 000000004C60: D2010055 04425311
	v_cmp_u_f32_e64 s[70:71], v92, v92                         // 000000004C68: D0480046 0002B95C
	v_bfe_u32 v40, v92, 16, 1                                  // 000000004C70: D1C80028 0205215C
	v_add3_u32 v40, v92, v40, v43                              // 000000004C78: D1FF0028 04AE515C
	v_cndmask_b32_e64 v16, v40, v42, s[70:71]                  // 000000004C80: D1000010 011A5528
	v_lshrrev_b32_e32 v16, 16, v16                             // 000000004C88: 20202090
	v_cmp_u_f32_e64 s[70:71], v93, v93                         // 000000004C8C: D0480046 0002BB5D
	v_bfe_u32 v40, v93, 16, 1                                  // 000000004C94: D1C80028 0205215D
	v_add3_u32 v40, v93, v40, v43                              // 000000004C9C: D1FF0028 04AE515D
	v_cndmask_b32_e64 v17, v40, v42, s[70:71]                  // 000000004CA4: D1000011 011A5528
	v_and_or_b32 v86, v17, v41, v16                            // 000000004CAC: D2010056 04425311
	v_cmp_u_f32_e64 s[70:71], v94, v94                         // 000000004CB4: D0480046 0002BD5E
	v_bfe_u32 v40, v94, 16, 1                                  // 000000004CBC: D1C80028 0205215E
	v_add3_u32 v40, v94, v40, v43                              // 000000004CC4: D1FF0028 04AE515E
	v_cndmask_b32_e64 v16, v40, v42, s[70:71]                  // 000000004CCC: D1000010 011A5528
	v_lshrrev_b32_e32 v16, 16, v16                             // 000000004CD4: 20202090
	v_cmp_u_f32_e64 s[70:71], v95, v95                         // 000000004CD8: D0480046 0002BF5F
	v_bfe_u32 v40, v95, 16, 1                                  // 000000004CE0: D1C80028 0205215F
	v_add3_u32 v40, v95, v40, v43                              // 000000004CE8: D1FF0028 04AE515F
	v_cndmask_b32_e64 v17, v40, v42, s[70:71]                  // 000000004CF0: D1000011 011A5528
	v_and_or_b32 v87, v17, v41, v16                            // 000000004CF8: D2010057 04425311
	v_mfma_f32_32x32x8_bf16 v[64:79], v[222:223], v[190:191], v[64:79]// 000000004D00: D3E00040 05037DDE
	s_waitcnt vmcnt(8)                                         // 000000004D08: BF8C0F78
	s_barrier                                                  // 000000004D0C: BF8A0000
	v_perm_b32 v232, v229, v228, s50                           // 000000004D10: D1ED00E8 00CBC9E5
	v_perm_b32 v234, v229, v228, s49                           // 000000004D18: D1ED00EA 00C7C9E5
	v_perm_b32 v233, v231, v230, s50                           // 000000004D20: D1ED00E9 00CBCDE7
	v_perm_b32 v235, v231, v230, s49                           // 000000004D28: D1ED00EB 00C7CDE7
	ds_write_b64 v14, v[232:233] offset:17408                  // 000000004D30: D89A4400 0000E80E
	ds_write_b64 v14, v[234:235] offset:21568                  // 000000004D38: D89A5440 0000EA0E
	s_waitcnt lgkmcnt(0)                                       // 000000004D40: BF8CC07F
	s_barrier                                                  // 000000004D44: BF8A0000
	s_mov_b32 m0, s68                                          // 000000004D48: BEFC0044
	buffer_load_dword v4, s[12:15], s60 offen lds              // 000000004D4C: E0511000 3C030004
	s_add_u32 m0, 0x880, m0                                    // 000000004D54: 807C7CFF 00000880
	buffer_load_dword v5, s[12:15], s60 offen lds              // 000000004D5C: E0511000 3C030005
	s_add_u32 m0, 0x880, m0                                    // 000000004D64: 807C7CFF 00000880
	buffer_load_dword v6, s[12:15], s60 offen lds              // 000000004D6C: E0511000 3C030006
	s_add_u32 m0, 0x880, m0                                    // 000000004D74: 807C7CFF 00000880
	buffer_load_dword v7, s[12:15], s60 offen lds              // 000000004D7C: E0511000 3C030007
	s_add_u32 m0, 0x880, m0                                    // 000000004D84: 807C7CFF 00000880
	s_add_i32 s60, s43, s60                                    // 000000004D8C: 813C3C2B
	s_nop 0                                                    // 000000004D90: BF800000
	s_add_u32 s40, 0x80, s39                                   // 000000004D94: 802827FF 00000080
	s_nop 0                                                    // 000000004D9C: BF800000
	s_cmp_lt_u32 s40, s38                                      // 000000004DA0: BF0A2628
	s_cselect_b32 s43, s43, 0                                  // 000000004DA4: 852B802B
	ds_read_b64 v[192:193], v13 offset:17408                   // 000000004DA8: D8EC4400 C000000D
	ds_read_b64 v[194:195], v13 offset:18432                   // 000000004DB0: D8EC4800 C200000D
	ds_read_b64 v[196:197], v13 offset:19456                   // 000000004DB8: D8EC4C00 C400000D
	ds_read_b64 v[198:199], v13 offset:20480                   // 000000004DC0: D8EC5000 C600000D
	ds_read_b64 v[200:201], v13 offset:17536                   // 000000004DC8: D8EC4480 C800000D
	ds_read_b64 v[202:203], v13 offset:18560                   // 000000004DD0: D8EC4880 CA00000D
	ds_read_b64 v[204:205], v13 offset:19584                   // 000000004DD8: D8EC4C80 CC00000D
	ds_read_b64 v[206:207], v13 offset:20608                   // 000000004DE0: D8EC5080 CE00000D
	ds_read_b64 v[208:209], v13 offset:17664                   // 000000004DE8: D8EC4500 D000000D
	ds_read_b64 v[210:211], v13 offset:18688                   // 000000004DF0: D8EC4900 D200000D
	ds_read_b64 v[212:213], v13 offset:19712                   // 000000004DF8: D8EC4D00 D400000D
	ds_read_b64 v[214:215], v13 offset:20736                   // 000000004E00: D8EC5100 D600000D
	ds_read_b64 v[216:217], v13 offset:17792                   // 000000004E08: D8EC4580 D800000D
	ds_read_b64 v[218:219], v13 offset:18816                   // 000000004E10: D8EC4980 DA00000D
	ds_read_b64 v[220:221], v13 offset:19840                   // 000000004E18: D8EC4D80 DC00000D
	ds_read_b64 v[222:223], v13 offset:20864                   // 000000004E20: D8EC5180 DE00000D
	s_nop 0                                                    // 000000004E28: BF800000
	s_cmp_lt_i32 s52, s54                                      // 000000004E2C: BF043634
	s_cbranch_scc1 label_0710                                  // 000000004E30: BF850043
	s_sub_i32 s40, s7, s52                                     // 000000004E34: 81A83407
	v_sub_i32 v16, s40, v30                                    // 000000004E38: D29D0010 00023C28
	v_cmp_lt_i32_e64 s[72:73], 0, v16                          // 000000004E40: D0C10048 00022080
	v_cmp_lt_i32_e64 s[74:75], 1, v16                          // 000000004E48: D0C1004A 00022081
	v_cndmask_b32_e64 v64, v31, v64, s[72:73]                  // 000000004E50: D1000040 0122811F
	v_cndmask_b32_e64 v65, v31, v65, s[74:75]                  // 000000004E58: D1000041 012A831F
	v_cmp_lt_i32_e64 s[72:73], 2, v16                          // 000000004E60: D0C10048 00022082
	v_cmp_lt_i32_e64 s[74:75], 3, v16                          // 000000004E68: D0C1004A 00022083
	v_cndmask_b32_e64 v66, v31, v66, s[72:73]                  // 000000004E70: D1000042 0122851F
	v_cndmask_b32_e64 v67, v31, v67, s[74:75]                  // 000000004E78: D1000043 012A871F
	v_cmp_lt_i32_e64 s[72:73], 8, v16                          // 000000004E80: D0C10048 00022088
	v_cmp_lt_i32_e64 s[74:75], 9, v16                          // 000000004E88: D0C1004A 00022089
	v_cndmask_b32_e64 v68, v31, v68, s[72:73]                  // 000000004E90: D1000044 0122891F
	v_cndmask_b32_e64 v69, v31, v69, s[74:75]                  // 000000004E98: D1000045 012A8B1F
	v_cmp_lt_i32_e64 s[72:73], 10, v16                         // 000000004EA0: D0C10048 0002208A
	v_cmp_lt_i32_e64 s[74:75], 11, v16                         // 000000004EA8: D0C1004A 0002208B
	v_cndmask_b32_e64 v70, v31, v70, s[72:73]                  // 000000004EB0: D1000046 01228D1F
	v_cndmask_b32_e64 v71, v31, v71, s[74:75]                  // 000000004EB8: D1000047 012A8F1F
	v_cmp_lt_i32_e64 s[72:73], 16, v16                         // 000000004EC0: D0C10048 00022090
	v_cmp_lt_i32_e64 s[74:75], 17, v16                         // 000000004EC8: D0C1004A 00022091
	v_cndmask_b32_e64 v72, v31, v72, s[72:73]                  // 000000004ED0: D1000048 0122911F
	v_cndmask_b32_e64 v73, v31, v73, s[74:75]                  // 000000004ED8: D1000049 012A931F
	v_cmp_lt_i32_e64 s[72:73], 18, v16                         // 000000004EE0: D0C10048 00022092
	v_cmp_lt_i32_e64 s[74:75], 19, v16                         // 000000004EE8: D0C1004A 00022093
	v_cndmask_b32_e64 v74, v31, v74, s[72:73]                  // 000000004EF0: D100004A 0122951F
	v_cndmask_b32_e64 v75, v31, v75, s[74:75]                  // 000000004EF8: D100004B 012A971F
	v_cmp_lt_i32_e64 s[72:73], 24, v16                         // 000000004F00: D0C10048 00022098
	v_cmp_lt_i32_e64 s[74:75], 25, v16                         // 000000004F08: D0C1004A 00022099
	v_cndmask_b32_e64 v76, v31, v76, s[72:73]                  // 000000004F10: D100004C 0122991F
	v_cndmask_b32_e64 v77, v31, v77, s[74:75]                  // 000000004F18: D100004D 012A9B1F
	v_cmp_lt_i32_e64 s[72:73], 26, v16                         // 000000004F20: D0C10048 0002209A
	v_cmp_lt_i32_e64 s[74:75], 27, v16                         // 000000004F28: D0C1004A 0002209B
	v_cndmask_b32_e64 v78, v31, v78, s[72:73]                  // 000000004F30: D100004E 01229D1F
	v_cndmask_b32_e64 v79, v31, v79, s[74:75]                  // 000000004F38: D100004F 012A9F1F

0000000000004f40 <label_0710>:
	s_waitcnt lgkmcnt(0)                                       // 000000004F40: BF8CC07F
	s_barrier                                                  // 000000004F44: BF8A0000
	v_max3_f32 v25, v64, v65, v28                              // 000000004F48: D1D30019 04728340
	v_max3_f32 v25, v66, v67, v25                              // 000000004F50: D1D30019 04668742
	v_max3_f32 v25, v68, v69, v25                              // 000000004F58: D1D30019 04668B44
	v_max3_f32 v25, v70, v71, v25                              // 000000004F60: D1D30019 04668F46
	v_max3_f32 v25, v72, v73, v25                              // 000000004F68: D1D30019 04669348
	v_max3_f32 v25, v74, v75, v25                              // 000000004F70: D1D30019 0466974A
	v_max3_f32 v25, v76, v77, v25                              // 000000004F78: D1D30019 04669B4C
	v_max3_f32 v25, v78, v79, v25                              // 000000004F80: D1D30019 04669F4E
	v_mfma_f32_32x32x8_bf16 v[96:111], v[192:193], v[80:81], v[96:111]// 000000004F88: D3E00060 0582A1C0
	ds_permute_b32 v24, v32, v25                               // 000000004F90: D87C0000 18001920
	v_mfma_f32_32x32x8_bf16 v[96:111], v[194:195], v[82:83], v[96:111]// 000000004F98: D3E00060 0582A5C2
	v_mfma_f32_32x32x8_bf16 v[96:111], v[196:197], v[84:85], v[96:111]// 000000004FA0: D3E00060 0582A9C4
	v_mfma_f32_32x32x8_bf16 v[96:111], v[198:199], v[86:87], v[96:111]// 000000004FA8: D3E00060 0582ADC6
	v_mfma_f32_32x32x8_bf16 v[112:127], v[200:201], v[80:81], v[112:127]// 000000004FB0: D3E00070 05C2A1C8
	v_mfma_f32_32x32x8_bf16 v[112:127], v[202:203], v[82:83], v[112:127]// 000000004FB8: D3E00070 05C2A5CA
	v_mfma_f32_32x32x8_bf16 v[112:127], v[204:205], v[84:85], v[112:127]// 000000004FC0: D3E00070 05C2A9CC
	v_mfma_f32_32x32x8_bf16 v[112:127], v[206:207], v[86:87], v[112:127]// 000000004FC8: D3E00070 05C2ADCE
	v_mfma_f32_32x32x8_bf16 v[128:143], v[208:209], v[80:81], v[128:143]// 000000004FD0: D3E00080 0602A1D0
	s_waitcnt lgkmcnt(0)                                       // 000000004FD8: BF8CC07F
	v_mfma_f32_32x32x8_bf16 v[128:143], v[210:211], v[82:83], v[128:143]// 000000004FDC: D3E00080 0602A5D2
	v_mfma_f32_32x32x8_bf16 v[128:143], v[212:213], v[84:85], v[128:143]// 000000004FE4: D3E00080 0602A9D4
	v_mfma_f32_32x32x8_bf16 v[128:143], v[214:215], v[86:87], v[128:143]// 000000004FEC: D3E00080 0602ADD6
	v_mfma_f32_32x32x8_bf16 v[144:159], v[216:217], v[80:81], v[144:159]// 000000004FF4: D3E00090 0642A1D8
	v_mfma_f32_32x32x8_bf16 v[144:159], v[218:219], v[82:83], v[144:159]// 000000004FFC: D3E00090 0642A5DA
	v_mfma_f32_32x32x8_bf16 v[144:159], v[220:221], v[84:85], v[144:159]// 000000005004: D3E00090 0642A9DC
	v_max_f32_e32 v25, v24, v25                                // 00000000500C: 16323318
	v_sub_f32_e32 v20, v28, v25                                // 000000005010: 0428331C
	v_mov_b32_e32 v28, v25                                     // 000000005014: 7E380319
	v_mul_f32_e32 v27, s56, v25                                // 000000005018: 0A363238
	v_mul_f32_e32 v20, s56, v20                                // 00000000501C: 0A282838
	v_exp_f32_e32 v20, v20                                     // 000000005020: 7E284114
	v_add_f32_e64 v36, 0, -v27                                 // 000000005024: D1010024 40023680
	v_mov_b32_e32 v37, v36                                     // 00000000502C: 7E4A0324
	v_pk_fma_f32 v[64:65], v[64:65], s[56:57], v[36:37]        // 000000005030: D3B04040 1C907140
	v_pk_fma_f32 v[66:67], v[66:67], s[56:57], v[36:37]        // 000000005038: D3B04042 1C907142
	v_pk_fma_f32 v[68:69], v[68:69], s[56:57], v[36:37]        // 000000005040: D3B04044 1C907144
	v_pk_fma_f32 v[70:71], v[70:71], s[56:57], v[36:37]        // 000000005048: D3B04046 1C907146
	v_pk_fma_f32 v[72:73], v[72:73], s[56:57], v[36:37]        // 000000005050: D3B04048 1C907148
	v_pk_fma_f32 v[74:75], v[74:75], s[56:57], v[36:37]        // 000000005058: D3B0404A 1C90714A
	v_pk_fma_f32 v[76:77], v[76:77], s[56:57], v[36:37]        // 000000005060: D3B0404C 1C90714C
	v_pk_fma_f32 v[78:79], v[78:79], s[56:57], v[36:37]        // 000000005068: D3B0404E 1C90714E
	v_mfma_f32_32x32x8_bf16 v[144:159], v[222:223], v[86:87], v[144:159]// 000000005070: D3E00090 0642ADDE
	s_setprio 1                                                // 000000005078: BF8F0001
	s_waitcnt vmcnt(8)                                         // 00000000507C: BF8C0F78
	s_barrier                                                  // 000000005080: BF8A0000
	v_mov_b32_e32 v21, v20                                     // 000000005084: 7E2A0314
	v_mul_f32_e32 v96, v20, v96                                // 000000005088: 0AC0C114
	v_mul_f32_e32 v97, v20, v97                                // 00000000508C: 0AC2C314
	v_pk_mul_f32 v[98:99], v[20:21], v[98:99]                  // 000000005090: D3B14062 1802C514
	v_pk_mul_f32 v[100:101], v[20:21], v[100:101]              // 000000005098: D3B14064 1802C914
	v_pk_mul_f32 v[102:103], v[20:21], v[102:103]              // 0000000050A0: D3B14066 1802CD14
	v_pk_mul_f32 v[104:105], v[20:21], v[104:105]              // 0000000050A8: D3B14068 1802D114
	v_pk_mul_f32 v[106:107], v[20:21], v[106:107]              // 0000000050B0: D3B1406A 1802D514
	v_pk_mul_f32 v[108:109], v[20:21], v[108:109]              // 0000000050B8: D3B1406C 1802D914
	v_pk_mul_f32 v[110:111], v[20:21], v[110:111]              // 0000000050C0: D3B1406E 1802DD14
	v_pk_mul_f32 v[112:113], v[20:21], v[112:113]              // 0000000050C8: D3B14070 1802E114
	v_pk_mul_f32 v[114:115], v[20:21], v[114:115]              // 0000000050D0: D3B14072 1802E514
	v_pk_mul_f32 v[116:117], v[20:21], v[116:117]              // 0000000050D8: D3B14074 1802E914
	v_pk_mul_f32 v[118:119], v[20:21], v[118:119]              // 0000000050E0: D3B14076 1802ED14
	v_pk_mul_f32 v[120:121], v[20:21], v[120:121]              // 0000000050E8: D3B14078 1802F114
	v_pk_mul_f32 v[122:123], v[20:21], v[122:123]              // 0000000050F0: D3B1407A 1802F514
	v_pk_mul_f32 v[124:125], v[20:21], v[124:125]              // 0000000050F8: D3B1407C 1802F914
	v_pk_mul_f32 v[126:127], v[20:21], v[126:127]              // 000000005100: D3B1407E 1802FD14
	v_pk_mul_f32 v[128:129], v[20:21], v[128:129]              // 000000005108: D3B14080 18030114
	v_pk_mul_f32 v[130:131], v[20:21], v[130:131]              // 000000005110: D3B14082 18030514
	v_pk_mul_f32 v[132:133], v[20:21], v[132:133]              // 000000005118: D3B14084 18030914
	v_pk_mul_f32 v[134:135], v[20:21], v[134:135]              // 000000005120: D3B14086 18030D14
	v_pk_mul_f32 v[136:137], v[20:21], v[136:137]              // 000000005128: D3B14088 18031114
	v_pk_mul_f32 v[138:139], v[20:21], v[138:139]              // 000000005130: D3B1408A 18031514
	v_pk_mul_f32 v[140:141], v[20:21], v[140:141]              // 000000005138: D3B1408C 18031914
	v_pk_mul_f32 v[142:143], v[20:21], v[142:143]              // 000000005140: D3B1408E 18031D14
	v_pk_mul_f32 v[144:145], v[20:21], v[144:145]              // 000000005148: D3B14090 18032114
	v_pk_mul_f32 v[146:147], v[20:21], v[146:147]              // 000000005150: D3B14092 18032514
	v_pk_mul_f32 v[148:149], v[20:21], v[148:149]              // 000000005158: D3B14094 18032914
	v_pk_mul_f32 v[150:151], v[20:21], v[150:151]              // 000000005160: D3B14096 18032D14
	v_pk_mul_f32 v[152:153], v[20:21], v[152:153]              // 000000005168: D3B14098 18033114
	v_pk_mul_f32 v[154:155], v[20:21], v[154:155]              // 000000005170: D3B1409A 18033514
	v_pk_mul_f32 v[156:157], v[20:21], v[156:157]              // 000000005178: D3B1409C 18033914
	v_pk_mul_f32 v[158:159], v[20:21], v[158:159]              // 000000005180: D3B1409E 18033D14
	s_nop 0                                                    // 000000005188: BF800000
	s_setprio 0                                                // 00000000518C: BF8F0000
	s_nop 15                                                   // 000000005190: BF80000F
	s_nop 7                                                    // 000000005194: BF800007
	buffer_load_dword v228, v8, s[16:19], s35 offen            // 000000005198: E0501000 2304E408
	buffer_load_dword v229, v9, s[16:19], s35 offen            // 0000000051A0: E0501000 2304E509
	buffer_load_dword v230, v10, s[16:19], s35 offen           // 0000000051A8: E0501000 2304E60A
	buffer_load_dword v231, v11, s[16:19], s35 offen           // 0000000051B0: E0501000 2304E70B
	s_add_i32 s35, s44, s35                                    // 0000000051B8: 8123232C
	s_nop 0                                                    // 0000000051BC: BF800000
	s_add_u32 s40, 0x60, s39                                   // 0000000051C0: 802827FF 00000060
	s_nop 0                                                    // 0000000051C8: BF800000
	s_cmp_lt_u32 s40, s38                                      // 0000000051CC: BF0A2628
	s_cselect_b32 s44, s44, 0                                  // 0000000051D0: 852C802C
	s_nop 0                                                    // 0000000051D4: BF800000
	ds_read_b128 v[192:195], v12 offset:8704                   // 0000000051D8: D9FE2200 C000000C
	ds_read_b128 v[196:199], v12 offset:8736                   // 0000000051E0: D9FE2220 C400000C
	ds_read_b128 v[200:203], v12 offset:8768                   // 0000000051E8: D9FE2240 C800000C
	ds_read_b128 v[204:207], v12 offset:8800                   // 0000000051F0: D9FE2260 CC00000C
	ds_read_b128 v[208:211], v12 offset:8832                   // 0000000051F8: D9FE2280 D000000C
	ds_read_b128 v[212:215], v12 offset:8864                   // 000000005200: D9FE22A0 D400000C
	ds_read_b128 v[216:219], v12 offset:8896                   // 000000005208: D9FE22C0 D800000C
	ds_read_b128 v[220:223], v12 offset:8928                   // 000000005210: D9FE22E0 DC00000C
	s_add_i32 s52, s52, s53                                    // 000000005218: 81343534
	s_addk_i32 s39, 0x20                                       // 00000000521C: B7270020
	s_cmp_lt_i32 s39, s38                                      // 000000005220: BF042627
	s_nop 0                                                    // 000000005224: BF800000
	s_cbranch_scc0 label_0C0A                                  // 000000005228: BF84043F
	s_branch label_0382                                        // 00000000522C: BF82FBB6

0000000000005230 <label_07CC>:
	s_setprio 1                                                // 000000005230: BF8F0001
	s_barrier                                                  // 000000005234: BF8A0000

0000000000005238 <label_07CE>:
	buffer_load_dword v228, v8, s[16:19], s35 offen            // 000000005238: E0501000 2304E408
	buffer_load_dword v229, v9, s[16:19], s35 offen            // 000000005240: E0501000 2304E509
	buffer_load_dword v230, v10, s[16:19], s35 offen           // 000000005248: E0501000 2304E60A
	buffer_load_dword v231, v11, s[16:19], s35 offen           // 000000005250: E0501000 2304E70B
	s_add_i32 s35, s44, s35                                    // 000000005258: 8123232C
	s_nop 0                                                    // 00000000525C: BF800000
	s_add_u32 s40, 64, s39                                     // 000000005260: 802827C0
	s_nop 0                                                    // 000000005264: BF800000
	s_cmp_lt_u32 s40, s38                                      // 000000005268: BF0A2628
	s_cselect_b32 s44, s44, 0                                  // 00000000526C: 852C802C
	ds_read_b128 v[192:195], v12 offset:8704                   // 000000005270: D9FE2200 C000000C
	ds_read_b128 v[196:199], v12 offset:8736                   // 000000005278: D9FE2220 C400000C
	ds_read_b128 v[200:203], v12 offset:8768                   // 000000005280: D9FE2240 C800000C
	ds_read_b128 v[204:207], v12 offset:8800                   // 000000005288: D9FE2260 CC00000C
	ds_read_b128 v[208:211], v12 offset:8832                   // 000000005290: D9FE2280 D000000C
	ds_read_b128 v[212:215], v12 offset:8864                   // 000000005298: D9FE22A0 D400000C
	ds_read_b128 v[216:219], v12 offset:8896                   // 0000000052A0: D9FE22C0 D800000C
	ds_read_b128 v[220:223], v12 offset:8928                   // 0000000052A8: D9FE22E0 DC00000C
	s_waitcnt vmcnt(8) lgkmcnt(0)                              // 0000000052B0: BF8C0078
	s_barrier                                                  // 0000000052B4: BF8A0000
	v_perm_b32 v232, v225, v224, s50                           // 0000000052B8: D1ED00E8 00CBC1E1
	v_perm_b32 v234, v225, v224, s49                           // 0000000052C0: D1ED00EA 00C7C1E1
	v_perm_b32 v233, v227, v226, s50                           // 0000000052C8: D1ED00E9 00CBC5E3
	v_perm_b32 v235, v227, v226, s49                           // 0000000052D0: D1ED00EB 00C7C5E3
	s_nop 3                                                    // 0000000052D8: BF800003
	v_mfma_f32_32x32x8_bf16 v[80:95], v[192:193], v[160:161], 0// 0000000052DC: D3E00050 020341C0
	ds_write_b64 v14, v[232:233] offset:17408                  // 0000000052E4: D89A4400 0000E80E
	v_mfma_f32_32x32x8_bf16 v[80:95], v[194:195], v[162:163], v[80:95]// 0000000052EC: D3E00050 054345C2
	ds_write_b64 v14, v[234:235] offset:21568                  // 0000000052F4: D89A5440 0000EA0E
	v_mfma_f32_32x32x8_bf16 v[80:95], v[196:197], v[164:165], v[80:95]// 0000000052FC: D3E00050 054349C4
	v_mfma_f32_32x32x8_bf16 v[80:95], v[198:199], v[166:167], v[80:95]// 000000005304: D3E00050 05434DC6
	v_mfma_f32_32x32x8_bf16 v[80:95], v[200:201], v[168:169], v[80:95]// 00000000530C: D3E00050 054351C8
	v_mfma_f32_32x32x8_bf16 v[80:95], v[202:203], v[170:171], v[80:95]// 000000005314: D3E00050 054355CA
	v_mfma_f32_32x32x8_bf16 v[80:95], v[204:205], v[172:173], v[80:95]// 00000000531C: D3E00050 054359CC
	s_waitcnt lgkmcnt(0)                                       // 000000005324: BF8CC07F
	s_barrier                                                  // 000000005328: BF8A0000
	v_mfma_f32_32x32x8_bf16 v[80:95], v[206:207], v[174:175], v[80:95]// 00000000532C: D3E00050 05435DCE
	v_mfma_f32_32x32x8_bf16 v[80:95], v[208:209], v[176:177], v[80:95]// 000000005334: D3E00050 054361D0
	v_mfma_f32_32x32x8_bf16 v[80:95], v[210:211], v[178:179], v[80:95]// 00000000533C: D3E00050 054365D2
	v_mfma_f32_32x32x8_bf16 v[80:95], v[212:213], v[180:181], v[80:95]// 000000005344: D3E00050 054369D4
	v_mfma_f32_32x32x8_bf16 v[80:95], v[214:215], v[182:183], v[80:95]// 00000000534C: D3E00050 05436DD6
	v_mfma_f32_32x32x8_bf16 v[80:95], v[216:217], v[184:185], v[80:95]// 000000005354: D3E00050 054371D8
	v_mfma_f32_32x32x8_bf16 v[80:95], v[218:219], v[186:187], v[80:95]// 00000000535C: D3E00050 054375DA
	v_mfma_f32_32x32x8_bf16 v[80:95], v[220:221], v[188:189], v[80:95]// 000000005364: D3E00050 054379DC
	v_exp_f32_e32 v64, v64                                     // 00000000536C: 7E804140
	v_exp_f32_e32 v65, v65                                     // 000000005370: 7E824141
	v_exp_f32_e32 v66, v66                                     // 000000005374: 7E844142
	v_exp_f32_e32 v67, v67                                     // 000000005378: 7E864143
	v_exp_f32_e32 v68, v68                                     // 00000000537C: 7E884144
	v_exp_f32_e32 v69, v69                                     // 000000005380: 7E8A4145
	v_exp_f32_e32 v70, v70                                     // 000000005384: 7E8C4146
	v_exp_f32_e32 v71, v71                                     // 000000005388: 7E8E4147
	v_exp_f32_e32 v72, v72                                     // 00000000538C: 7E904148
	v_exp_f32_e32 v73, v73                                     // 000000005390: 7E924149
	v_exp_f32_e32 v74, v74                                     // 000000005394: 7E94414A
	v_exp_f32_e32 v75, v75                                     // 000000005398: 7E96414B
	v_exp_f32_e32 v76, v76                                     // 00000000539C: 7E98414C
	v_exp_f32_e32 v77, v77                                     // 0000000053A0: 7E9A414D
	v_exp_f32_e32 v78, v78                                     // 0000000053A4: 7E9C414E
	v_exp_f32_e32 v79, v79                                     // 0000000053A8: 7E9E414F
	v_mul_f32_e32 v22, v20, v22                                // 0000000053AC: 0A2C2D14
	v_pk_add_f32 v[38:39], v[64:65], v[66:67]                  // 0000000053B0: D3B24026 18028540
	v_pk_add_f32 v[38:39], v[68:69], v[38:39]                  // 0000000053B8: D3B24026 18024D44
	v_pk_add_f32 v[38:39], v[70:71], v[38:39]                  // 0000000053C0: D3B24026 18024D46
	v_pk_add_f32 v[38:39], v[72:73], v[38:39]                  // 0000000053C8: D3B24026 18024D48
	v_pk_add_f32 v[38:39], v[74:75], v[38:39]                  // 0000000053D0: D3B24026 18024D4A
	v_pk_add_f32 v[38:39], v[76:77], v[38:39]                  // 0000000053D8: D3B24026 18024D4C
	v_pk_add_f32 v[38:39], v[78:79], v[38:39]                  // 0000000053E0: D3B24026 18024D4E
	v_add_f32_e32 v38, v38, v39                                // 0000000053E8: 024C4F26
	v_add_f32_e32 v22, v38, v22                                // 0000000053EC: 022C2D26
	v_cmp_u_f32_e64 s[70:71], v64, v64                         // 0000000053F0: D0480046 00028140
	v_bfe_u32 v40, v64, 16, 1                                  // 0000000053F8: D1C80028 02052140
	v_add3_u32 v40, v64, v40, v43                              // 000000005400: D1FF0028 04AE5140
	v_cndmask_b32_e64 v16, v40, v42, s[70:71]                  // 000000005408: D1000010 011A5528
	v_lshrrev_b32_e32 v16, 16, v16                             // 000000005410: 20202090
	v_cmp_u_f32_e64 s[70:71], v65, v65                         // 000000005414: D0480046 00028341
	v_bfe_u32 v40, v65, 16, 1                                  // 00000000541C: D1C80028 02052141
	v_add3_u32 v40, v65, v40, v43                              // 000000005424: D1FF0028 04AE5141
	v_cndmask_b32_e64 v17, v40, v42, s[70:71]                  // 00000000542C: D1000011 011A5528
	v_and_or_b32 v64, v17, v41, v16                            // 000000005434: D2010040 04425311
	v_cmp_u_f32_e64 s[70:71], v66, v66                         // 00000000543C: D0480046 00028542
	v_bfe_u32 v40, v66, 16, 1                                  // 000000005444: D1C80028 02052142
	v_add3_u32 v40, v66, v40, v43                              // 00000000544C: D1FF0028 04AE5142
	v_cndmask_b32_e64 v16, v40, v42, s[70:71]                  // 000000005454: D1000010 011A5528
	v_lshrrev_b32_e32 v16, 16, v16                             // 00000000545C: 20202090
	v_cmp_u_f32_e64 s[70:71], v67, v67                         // 000000005460: D0480046 00028743
	v_bfe_u32 v40, v67, 16, 1                                  // 000000005468: D1C80028 02052143
	v_add3_u32 v40, v67, v40, v43                              // 000000005470: D1FF0028 04AE5143
	v_cndmask_b32_e64 v17, v40, v42, s[70:71]                  // 000000005478: D1000011 011A5528
	v_and_or_b32 v65, v17, v41, v16                            // 000000005480: D2010041 04425311
	v_cmp_u_f32_e64 s[70:71], v68, v68                         // 000000005488: D0480046 00028944
	v_bfe_u32 v40, v68, 16, 1                                  // 000000005490: D1C80028 02052144
	v_add3_u32 v40, v68, v40, v43                              // 000000005498: D1FF0028 04AE5144
	v_cndmask_b32_e64 v16, v40, v42, s[70:71]                  // 0000000054A0: D1000010 011A5528
	v_lshrrev_b32_e32 v16, 16, v16                             // 0000000054A8: 20202090
	v_cmp_u_f32_e64 s[70:71], v69, v69                         // 0000000054AC: D0480046 00028B45
	v_bfe_u32 v40, v69, 16, 1                                  // 0000000054B4: D1C80028 02052145
	v_add3_u32 v40, v69, v40, v43                              // 0000000054BC: D1FF0028 04AE5145
	v_cndmask_b32_e64 v17, v40, v42, s[70:71]                  // 0000000054C4: D1000011 011A5528
	v_and_or_b32 v66, v17, v41, v16                            // 0000000054CC: D2010042 04425311
	v_cmp_u_f32_e64 s[70:71], v70, v70                         // 0000000054D4: D0480046 00028D46
	v_bfe_u32 v40, v70, 16, 1                                  // 0000000054DC: D1C80028 02052146
	v_add3_u32 v40, v70, v40, v43                              // 0000000054E4: D1FF0028 04AE5146
	v_cndmask_b32_e64 v16, v40, v42, s[70:71]                  // 0000000054EC: D1000010 011A5528
	v_lshrrev_b32_e32 v16, 16, v16                             // 0000000054F4: 20202090
	v_cmp_u_f32_e64 s[70:71], v71, v71                         // 0000000054F8: D0480046 00028F47
	v_bfe_u32 v40, v71, 16, 1                                  // 000000005500: D1C80028 02052147
	v_add3_u32 v40, v71, v40, v43                              // 000000005508: D1FF0028 04AE5147
	v_cndmask_b32_e64 v17, v40, v42, s[70:71]                  // 000000005510: D1000011 011A5528
	v_and_or_b32 v67, v17, v41, v16                            // 000000005518: D2010043 04425311
	v_cmp_u_f32_e64 s[70:71], v72, v72                         // 000000005520: D0480046 00029148
	v_bfe_u32 v40, v72, 16, 1                                  // 000000005528: D1C80028 02052148
	v_add3_u32 v40, v72, v40, v43                              // 000000005530: D1FF0028 04AE5148
	v_cndmask_b32_e64 v16, v40, v42, s[70:71]                  // 000000005538: D1000010 011A5528
	v_lshrrev_b32_e32 v16, 16, v16                             // 000000005540: 20202090
	v_cmp_u_f32_e64 s[70:71], v73, v73                         // 000000005544: D0480046 00029349
	v_bfe_u32 v40, v73, 16, 1                                  // 00000000554C: D1C80028 02052149
	v_add3_u32 v40, v73, v40, v43                              // 000000005554: D1FF0028 04AE5149
	v_cndmask_b32_e64 v17, v40, v42, s[70:71]                  // 00000000555C: D1000011 011A5528
	v_and_or_b32 v68, v17, v41, v16                            // 000000005564: D2010044 04425311
	v_cmp_u_f32_e64 s[70:71], v74, v74                         // 00000000556C: D0480046 0002954A
	v_bfe_u32 v40, v74, 16, 1                                  // 000000005574: D1C80028 0205214A
	v_add3_u32 v40, v74, v40, v43                              // 00000000557C: D1FF0028 04AE514A
	v_cndmask_b32_e64 v16, v40, v42, s[70:71]                  // 000000005584: D1000010 011A5528
	v_lshrrev_b32_e32 v16, 16, v16                             // 00000000558C: 20202090
	v_cmp_u_f32_e64 s[70:71], v75, v75                         // 000000005590: D0480046 0002974B
	v_bfe_u32 v40, v75, 16, 1                                  // 000000005598: D1C80028 0205214B
	v_add3_u32 v40, v75, v40, v43                              // 0000000055A0: D1FF0028 04AE514B
	v_cndmask_b32_e64 v17, v40, v42, s[70:71]                  // 0000000055A8: D1000011 011A5528
	v_and_or_b32 v69, v17, v41, v16                            // 0000000055B0: D2010045 04425311
	v_cmp_u_f32_e64 s[70:71], v76, v76                         // 0000000055B8: D0480046 0002994C
	v_bfe_u32 v40, v76, 16, 1                                  // 0000000055C0: D1C80028 0205214C
	v_add3_u32 v40, v76, v40, v43                              // 0000000055C8: D1FF0028 04AE514C
	v_cndmask_b32_e64 v16, v40, v42, s[70:71]                  // 0000000055D0: D1000010 011A5528
	v_lshrrev_b32_e32 v16, 16, v16                             // 0000000055D8: 20202090
	v_cmp_u_f32_e64 s[70:71], v77, v77                         // 0000000055DC: D0480046 00029B4D
	v_bfe_u32 v40, v77, 16, 1                                  // 0000000055E4: D1C80028 0205214D
	v_add3_u32 v40, v77, v40, v43                              // 0000000055EC: D1FF0028 04AE514D
	v_cndmask_b32_e64 v17, v40, v42, s[70:71]                  // 0000000055F4: D1000011 011A5528
	v_and_or_b32 v70, v17, v41, v16                            // 0000000055FC: D2010046 04425311
	v_cmp_u_f32_e64 s[70:71], v78, v78                         // 000000005604: D0480046 00029D4E
	v_bfe_u32 v40, v78, 16, 1                                  // 00000000560C: D1C80028 0205214E
	v_add3_u32 v40, v78, v40, v43                              // 000000005614: D1FF0028 04AE514E
	v_cndmask_b32_e64 v16, v40, v42, s[70:71]                  // 00000000561C: D1000010 011A5528
	v_lshrrev_b32_e32 v16, 16, v16                             // 000000005624: 20202090
	v_cmp_u_f32_e64 s[70:71], v79, v79                         // 000000005628: D0480046 00029F4F
	v_bfe_u32 v40, v79, 16, 1                                  // 000000005630: D1C80028 0205214F
	v_add3_u32 v40, v79, v40, v43                              // 000000005638: D1FF0028 04AE514F
	v_cndmask_b32_e64 v17, v40, v42, s[70:71]                  // 000000005640: D1000011 011A5528
	v_and_or_b32 v71, v17, v41, v16                            // 000000005648: D2010047 04425311
	v_mfma_f32_32x32x8_bf16 v[80:95], v[222:223], v[190:191], v[80:95]// 000000005650: D3E00050 05437DDE
	s_barrier                                                  // 000000005658: BF8A0000
	s_cmp_lt_i32 s52, s54                                      // 00000000565C: BF043634
	s_cbranch_scc1 label_091C                                  // 000000005660: BF850043
	s_sub_i32 s40, s7, s52                                     // 000000005664: 81A83407
	v_sub_i32 v16, s40, v30                                    // 000000005668: D29D0010 00023C28
	v_cmp_lt_i32_e64 s[72:73], 0, v16                          // 000000005670: D0C10048 00022080
	v_cmp_lt_i32_e64 s[74:75], 1, v16                          // 000000005678: D0C1004A 00022081
	v_cndmask_b32_e64 v80, v31, v80, s[72:73]                  // 000000005680: D1000050 0122A11F
	v_cndmask_b32_e64 v81, v31, v81, s[74:75]                  // 000000005688: D1000051 012AA31F
	v_cmp_lt_i32_e64 s[72:73], 2, v16                          // 000000005690: D0C10048 00022082
	v_cmp_lt_i32_e64 s[74:75], 3, v16                          // 000000005698: D0C1004A 00022083
	v_cndmask_b32_e64 v82, v31, v82, s[72:73]                  // 0000000056A0: D1000052 0122A51F
	v_cndmask_b32_e64 v83, v31, v83, s[74:75]                  // 0000000056A8: D1000053 012AA71F
	v_cmp_lt_i32_e64 s[72:73], 8, v16                          // 0000000056B0: D0C10048 00022088
	v_cmp_lt_i32_e64 s[74:75], 9, v16                          // 0000000056B8: D0C1004A 00022089
	v_cndmask_b32_e64 v84, v31, v84, s[72:73]                  // 0000000056C0: D1000054 0122A91F
	v_cndmask_b32_e64 v85, v31, v85, s[74:75]                  // 0000000056C8: D1000055 012AAB1F
	v_cmp_lt_i32_e64 s[72:73], 10, v16                         // 0000000056D0: D0C10048 0002208A
	v_cmp_lt_i32_e64 s[74:75], 11, v16                         // 0000000056D8: D0C1004A 0002208B
	v_cndmask_b32_e64 v86, v31, v86, s[72:73]                  // 0000000056E0: D1000056 0122AD1F
	v_cndmask_b32_e64 v87, v31, v87, s[74:75]                  // 0000000056E8: D1000057 012AAF1F
	v_cmp_lt_i32_e64 s[72:73], 16, v16                         // 0000000056F0: D0C10048 00022090
	v_cmp_lt_i32_e64 s[74:75], 17, v16                         // 0000000056F8: D0C1004A 00022091
	v_cndmask_b32_e64 v88, v31, v88, s[72:73]                  // 000000005700: D1000058 0122B11F
	v_cndmask_b32_e64 v89, v31, v89, s[74:75]                  // 000000005708: D1000059 012AB31F
	v_cmp_lt_i32_e64 s[72:73], 18, v16                         // 000000005710: D0C10048 00022092
	v_cmp_lt_i32_e64 s[74:75], 19, v16                         // 000000005718: D0C1004A 00022093
	v_cndmask_b32_e64 v90, v31, v90, s[72:73]                  // 000000005720: D100005A 0122B51F
	v_cndmask_b32_e64 v91, v31, v91, s[74:75]                  // 000000005728: D100005B 012AB71F
	v_cmp_lt_i32_e64 s[72:73], 24, v16                         // 000000005730: D0C10048 00022098
	v_cmp_lt_i32_e64 s[74:75], 25, v16                         // 000000005738: D0C1004A 00022099
	v_cndmask_b32_e64 v92, v31, v92, s[72:73]                  // 000000005740: D100005C 0122B91F
	v_cndmask_b32_e64 v93, v31, v93, s[74:75]                  // 000000005748: D100005D 012ABB1F
	v_cmp_lt_i32_e64 s[72:73], 26, v16                         // 000000005750: D0C10048 0002209A
	v_cmp_lt_i32_e64 s[74:75], 27, v16                         // 000000005758: D0C1004A 0002209B
	v_cndmask_b32_e64 v94, v31, v94, s[72:73]                  // 000000005760: D100005E 0122BD1F
	v_cndmask_b32_e64 v95, v31, v95, s[74:75]                  // 000000005768: D100005F 012ABF1F

0000000000005770 <label_091C>:
	s_nop 0                                                    // 000000005770: BF800000
	s_mov_b32 m0, s69                                          // 000000005774: BEFC0045
	buffer_load_dword v4, s[12:15], s60 offen lds              // 000000005778: E0511000 3C030004
	s_add_u32 m0, 0x880, m0                                    // 000000005780: 807C7CFF 00000880
	buffer_load_dword v5, s[12:15], s60 offen lds              // 000000005788: E0511000 3C030005
	s_add_u32 m0, 0x880, m0                                    // 000000005790: 807C7CFF 00000880
	buffer_load_dword v6, s[12:15], s60 offen lds              // 000000005798: E0511000 3C030006
	s_add_u32 m0, 0x880, m0                                    // 0000000057A0: 807C7CFF 00000880
	buffer_load_dword v7, s[12:15], s60 offen lds              // 0000000057A8: E0511000 3C030007
	s_add_u32 m0, 0x880, m0                                    // 0000000057B0: 807C7CFF 00000880
	s_add_i32 s60, s43, s60                                    // 0000000057B8: 813C3C2B
	s_nop 0                                                    // 0000000057BC: BF800000
	s_add_u32 s40, 0x80, s39                                   // 0000000057C0: 802827FF 00000080
	s_nop 0                                                    // 0000000057C8: BF800000
	s_cmp_lt_u32 s40, s38                                      // 0000000057CC: BF0A2628
	s_cselect_b32 s43, s43, 0                                  // 0000000057D0: 852B802B
	s_nop 7                                                    // 0000000057D4: BF800007
	ds_read_b64 v[192:193], v13 offset:17408                   // 0000000057D8: D8EC4400 C000000D
	ds_read_b64 v[194:195], v13 offset:18432                   // 0000000057E0: D8EC4800 C200000D
	ds_read_b64 v[196:197], v13 offset:19456                   // 0000000057E8: D8EC4C00 C400000D
	ds_read_b64 v[198:199], v13 offset:20480                   // 0000000057F0: D8EC5000 C600000D
	ds_read_b64 v[200:201], v13 offset:17536                   // 0000000057F8: D8EC4480 C800000D
	ds_read_b64 v[202:203], v13 offset:18560                   // 000000005800: D8EC4880 CA00000D
	ds_read_b64 v[204:205], v13 offset:19584                   // 000000005808: D8EC4C80 CC00000D
	ds_read_b64 v[206:207], v13 offset:20608                   // 000000005810: D8EC5080 CE00000D
	ds_read_b64 v[208:209], v13 offset:17664                   // 000000005818: D8EC4500 D000000D
	ds_read_b64 v[210:211], v13 offset:18688                   // 000000005820: D8EC4900 D200000D
	ds_read_b64 v[212:213], v13 offset:19712                   // 000000005828: D8EC4D00 D400000D
	ds_read_b64 v[214:215], v13 offset:20736                   // 000000005830: D8EC5100 D600000D
	ds_read_b64 v[216:217], v13 offset:17792                   // 000000005838: D8EC4580 D800000D
	ds_read_b64 v[218:219], v13 offset:18816                   // 000000005840: D8EC4980 DA00000D
	ds_read_b64 v[220:221], v13 offset:19840                   // 000000005848: D8EC4D80 DC00000D
	ds_read_b64 v[222:223], v13 offset:20864                   // 000000005850: D8EC5180 DE00000D
	s_nop 0                                                    // 000000005858: BF800000
	s_add_i32 s52, s52, s53                                    // 00000000585C: 81343534
	s_addk_i32 s39, 0x20                                       // 000000005860: B7270020
	s_cmp_lt_i32 s39, s38                                      // 000000005864: BF042627
	s_waitcnt vmcnt(8) lgkmcnt(0)                              // 000000005868: BF8C0078
	s_barrier                                                  // 00000000586C: BF8A0000
	v_max3_f32 v25, v80, v81, v28                              // 000000005870: D1D30019 0472A350
	v_max3_f32 v25, v82, v83, v25                              // 000000005878: D1D30019 0466A752
	v_max3_f32 v25, v84, v85, v25                              // 000000005880: D1D30019 0466AB54
	v_max3_f32 v25, v86, v87, v25                              // 000000005888: D1D30019 0466AF56
	v_max3_f32 v25, v88, v89, v25                              // 000000005890: D1D30019 0466B358
	v_max3_f32 v25, v90, v91, v25                              // 000000005898: D1D30019 0466B75A
	v_max3_f32 v25, v92, v93, v25                              // 0000000058A0: D1D30019 0466BB5C
	v_max3_f32 v25, v94, v95, v25                              // 0000000058A8: D1D30019 0466BF5E
	v_mfma_f32_32x32x8_bf16 v[96:111], v[192:193], v[64:65], v[96:111]// 0000000058B0: D3E00060 058281C0
	ds_permute_b32 v24, v32, v25                               // 0000000058B8: D87C0000 18001920
	v_mfma_f32_32x32x8_bf16 v[96:111], v[194:195], v[66:67], v[96:111]// 0000000058C0: D3E00060 058285C2
	v_mfma_f32_32x32x8_bf16 v[96:111], v[196:197], v[68:69], v[96:111]// 0000000058C8: D3E00060 058289C4
	v_mfma_f32_32x32x8_bf16 v[96:111], v[198:199], v[70:71], v[96:111]// 0000000058D0: D3E00060 05828DC6
	v_mfma_f32_32x32x8_bf16 v[112:127], v[200:201], v[64:65], v[112:127]// 0000000058D8: D3E00070 05C281C8
	v_mfma_f32_32x32x8_bf16 v[112:127], v[202:203], v[66:67], v[112:127]// 0000000058E0: D3E00070 05C285CA
	v_mfma_f32_32x32x8_bf16 v[112:127], v[204:205], v[68:69], v[112:127]// 0000000058E8: D3E00070 05C289CC
	v_mfma_f32_32x32x8_bf16 v[112:127], v[206:207], v[70:71], v[112:127]// 0000000058F0: D3E00070 05C28DCE
	v_mfma_f32_32x32x8_bf16 v[128:143], v[208:209], v[64:65], v[128:143]// 0000000058F8: D3E00080 060281D0
	s_waitcnt lgkmcnt(0)                                       // 000000005900: BF8CC07F
	v_mfma_f32_32x32x8_bf16 v[128:143], v[210:211], v[66:67], v[128:143]// 000000005904: D3E00080 060285D2
	v_mfma_f32_32x32x8_bf16 v[128:143], v[212:213], v[68:69], v[128:143]// 00000000590C: D3E00080 060289D4
	v_mfma_f32_32x32x8_bf16 v[128:143], v[214:215], v[70:71], v[128:143]// 000000005914: D3E00080 06028DD6
	v_mfma_f32_32x32x8_bf16 v[144:159], v[216:217], v[64:65], v[144:159]// 00000000591C: D3E00090 064281D8
	v_mfma_f32_32x32x8_bf16 v[144:159], v[218:219], v[66:67], v[144:159]// 000000005924: D3E00090 064285DA
	v_mfma_f32_32x32x8_bf16 v[144:159], v[220:221], v[68:69], v[144:159]// 00000000592C: D3E00090 064289DC
	v_mfma_f32_32x32x8_bf16 v[144:159], v[222:223], v[70:71], v[144:159]// 000000005934: D3E00090 06428DDE
	v_max_f32_e32 v25, v24, v25                                // 00000000593C: 16323318
	v_sub_f32_e32 v20, v28, v25                                // 000000005940: 0428331C
	v_mov_b32_e32 v28, v25                                     // 000000005944: 7E380319
	v_mul_f32_e32 v27, s56, v25                                // 000000005948: 0A363238
	v_mul_f32_e32 v20, s56, v20                                // 00000000594C: 0A282838
	v_exp_f32_e32 v20, v20                                     // 000000005950: 7E284114
	v_add_f32_e64 v36, 0, -v27                                 // 000000005954: D1010024 40023680
	v_mov_b32_e32 v37, v36                                     // 00000000595C: 7E4A0324
	v_pk_fma_f32 v[80:81], v[80:81], s[56:57], v[36:37]        // 000000005960: D3B04050 1C907150
	v_pk_fma_f32 v[82:83], v[82:83], s[56:57], v[36:37]        // 000000005968: D3B04052 1C907152
	v_pk_fma_f32 v[84:85], v[84:85], s[56:57], v[36:37]        // 000000005970: D3B04054 1C907154
	v_pk_fma_f32 v[86:87], v[86:87], s[56:57], v[36:37]        // 000000005978: D3B04056 1C907156
	v_pk_fma_f32 v[88:89], v[88:89], s[56:57], v[36:37]        // 000000005980: D3B04058 1C907158
	v_pk_fma_f32 v[90:91], v[90:91], s[56:57], v[36:37]        // 000000005988: D3B0405A 1C90715A
	v_pk_fma_f32 v[92:93], v[92:93], s[56:57], v[36:37]        // 000000005990: D3B0405C 1C90715C
	v_pk_fma_f32 v[94:95], v[94:95], s[56:57], v[36:37]        // 000000005998: D3B0405E 1C90715E
	v_nop                                                      // 0000000059A0: 7E000000
	v_mov_b32_e32 v21, v20                                     // 0000000059A4: 7E2A0314
	v_mul_f32_e32 v96, v20, v96                                // 0000000059A8: 0AC0C114
	v_mul_f32_e32 v97, v20, v97                                // 0000000059AC: 0AC2C314
	v_pk_mul_f32 v[98:99], v[20:21], v[98:99]                  // 0000000059B0: D3B14062 1802C514
	v_pk_mul_f32 v[100:101], v[20:21], v[100:101]              // 0000000059B8: D3B14064 1802C914
	v_pk_mul_f32 v[102:103], v[20:21], v[102:103]              // 0000000059C0: D3B14066 1802CD14
	v_pk_mul_f32 v[104:105], v[20:21], v[104:105]              // 0000000059C8: D3B14068 1802D114
	v_pk_mul_f32 v[106:107], v[20:21], v[106:107]              // 0000000059D0: D3B1406A 1802D514
	v_pk_mul_f32 v[108:109], v[20:21], v[108:109]              // 0000000059D8: D3B1406C 1802D914
	v_pk_mul_f32 v[110:111], v[20:21], v[110:111]              // 0000000059E0: D3B1406E 1802DD14
	v_pk_mul_f32 v[112:113], v[20:21], v[112:113]              // 0000000059E8: D3B14070 1802E114
	v_pk_mul_f32 v[114:115], v[20:21], v[114:115]              // 0000000059F0: D3B14072 1802E514
	v_pk_mul_f32 v[116:117], v[20:21], v[116:117]              // 0000000059F8: D3B14074 1802E914
	v_pk_mul_f32 v[118:119], v[20:21], v[118:119]              // 000000005A00: D3B14076 1802ED14
	v_pk_mul_f32 v[120:121], v[20:21], v[120:121]              // 000000005A08: D3B14078 1802F114
	v_pk_mul_f32 v[122:123], v[20:21], v[122:123]              // 000000005A10: D3B1407A 1802F514
	v_pk_mul_f32 v[124:125], v[20:21], v[124:125]              // 000000005A18: D3B1407C 1802F914
	v_pk_mul_f32 v[126:127], v[20:21], v[126:127]              // 000000005A20: D3B1407E 1802FD14
	v_pk_mul_f32 v[128:129], v[20:21], v[128:129]              // 000000005A28: D3B14080 18030114
	v_pk_mul_f32 v[130:131], v[20:21], v[130:131]              // 000000005A30: D3B14082 18030514
	v_pk_mul_f32 v[132:133], v[20:21], v[132:133]              // 000000005A38: D3B14084 18030914
	v_pk_mul_f32 v[134:135], v[20:21], v[134:135]              // 000000005A40: D3B14086 18030D14
	v_pk_mul_f32 v[136:137], v[20:21], v[136:137]              // 000000005A48: D3B14088 18031114
	v_pk_mul_f32 v[138:139], v[20:21], v[138:139]              // 000000005A50: D3B1408A 18031514
	v_pk_mul_f32 v[140:141], v[20:21], v[140:141]              // 000000005A58: D3B1408C 18031914
	v_pk_mul_f32 v[142:143], v[20:21], v[142:143]              // 000000005A60: D3B1408E 18031D14
	v_pk_mul_f32 v[144:145], v[20:21], v[144:145]              // 000000005A68: D3B14090 18032114
	v_pk_mul_f32 v[146:147], v[20:21], v[146:147]              // 000000005A70: D3B14092 18032514
	v_pk_mul_f32 v[148:149], v[20:21], v[148:149]              // 000000005A78: D3B14094 18032914
	v_pk_mul_f32 v[150:151], v[20:21], v[150:151]              // 000000005A80: D3B14096 18032D14
	v_pk_mul_f32 v[152:153], v[20:21], v[152:153]              // 000000005A88: D3B14098 18033114
	v_pk_mul_f32 v[154:155], v[20:21], v[154:155]              // 000000005A90: D3B1409A 18033514
	v_pk_mul_f32 v[156:157], v[20:21], v[156:157]              // 000000005A98: D3B1409C 18033914
	v_pk_mul_f32 v[158:159], v[20:21], v[158:159]              // 000000005AA0: D3B1409E 18033D14
	s_cbranch_scc0 label_0C0A                                  // 000000005AA8: BF84021F
	s_nop 0                                                    // 000000005AAC: BF800000
	buffer_load_dword v224, v8, s[16:19], s35 offen            // 000000005AB0: E0501000 2304E008
	buffer_load_dword v225, v9, s[16:19], s35 offen            // 000000005AB8: E0501000 2304E109
	buffer_load_dword v226, v10, s[16:19], s35 offen           // 000000005AC0: E0501000 2304E20A
	buffer_load_dword v227, v11, s[16:19], s35 offen           // 000000005AC8: E0501000 2304E30B
	s_add_i32 s35, s44, s35                                    // 000000005AD0: 8123232C
	s_nop 0                                                    // 000000005AD4: BF800000
	s_add_u32 s40, 64, s39                                     // 000000005AD8: 802827C0
	s_nop 0                                                    // 000000005ADC: BF800000
	s_cmp_lt_u32 s40, s38                                      // 000000005AE0: BF0A2628
	s_cselect_b32 s44, s44, 0                                  // 000000005AE4: 852C802C
	ds_read_b128 v[192:195], v12                               // 000000005AE8: D9FE0000 C000000C
	ds_read_b128 v[196:199], v12 offset:32                     // 000000005AF0: D9FE0020 C400000C
	ds_read_b128 v[200:203], v12 offset:64                     // 000000005AF8: D9FE0040 C800000C
	ds_read_b128 v[204:207], v12 offset:96                     // 000000005B00: D9FE0060 CC00000C
	ds_read_b128 v[208:211], v12 offset:128                    // 000000005B08: D9FE0080 D000000C
	ds_read_b128 v[212:215], v12 offset:160                    // 000000005B10: D9FE00A0 D400000C
	ds_read_b128 v[216:219], v12 offset:192                    // 000000005B18: D9FE00C0 D800000C
	ds_read_b128 v[220:223], v12 offset:224                    // 000000005B20: D9FE00E0 DC00000C
	s_waitcnt vmcnt(8) lgkmcnt(0)                              // 000000005B28: BF8C0078
	s_barrier                                                  // 000000005B2C: BF8A0000
	v_perm_b32 v232, v229, v228, s50                           // 000000005B30: D1ED00E8 00CBC9E5
	v_perm_b32 v234, v229, v228, s49                           // 000000005B38: D1ED00EA 00C7C9E5
	v_perm_b32 v233, v231, v230, s50                           // 000000005B40: D1ED00E9 00CBCDE7
	v_perm_b32 v235, v231, v230, s49                           // 000000005B48: D1ED00EB 00C7CDE7
	s_nop 3                                                    // 000000005B50: BF800003
	v_mfma_f32_32x32x8_bf16 v[64:79], v[192:193], v[160:161], 0// 000000005B54: D3E00040 020341C0
	ds_write_b64 v14, v[232:233] offset:17408                  // 000000005B5C: D89A4400 0000E80E
	v_mfma_f32_32x32x8_bf16 v[64:79], v[194:195], v[162:163], v[64:79]// 000000005B64: D3E00040 050345C2
	ds_write_b64 v14, v[234:235] offset:21568                  // 000000005B6C: D89A5440 0000EA0E
	v_mfma_f32_32x32x8_bf16 v[64:79], v[196:197], v[164:165], v[64:79]// 000000005B74: D3E00040 050349C4
	v_mfma_f32_32x32x8_bf16 v[64:79], v[198:199], v[166:167], v[64:79]// 000000005B7C: D3E00040 05034DC6
	v_mfma_f32_32x32x8_bf16 v[64:79], v[200:201], v[168:169], v[64:79]// 000000005B84: D3E00040 050351C8
	v_mfma_f32_32x32x8_bf16 v[64:79], v[202:203], v[170:171], v[64:79]// 000000005B8C: D3E00040 050355CA
	v_mfma_f32_32x32x8_bf16 v[64:79], v[204:205], v[172:173], v[64:79]// 000000005B94: D3E00040 050359CC
	s_waitcnt lgkmcnt(0)                                       // 000000005B9C: BF8CC07F
	s_barrier                                                  // 000000005BA0: BF8A0000
	v_mfma_f32_32x32x8_bf16 v[64:79], v[206:207], v[174:175], v[64:79]// 000000005BA4: D3E00040 05035DCE
	v_mfma_f32_32x32x8_bf16 v[64:79], v[208:209], v[176:177], v[64:79]// 000000005BAC: D3E00040 050361D0
	v_mfma_f32_32x32x8_bf16 v[64:79], v[210:211], v[178:179], v[64:79]// 000000005BB4: D3E00040 050365D2
	v_mfma_f32_32x32x8_bf16 v[64:79], v[212:213], v[180:181], v[64:79]// 000000005BBC: D3E00040 050369D4
	v_mfma_f32_32x32x8_bf16 v[64:79], v[214:215], v[182:183], v[64:79]// 000000005BC4: D3E00040 05036DD6
	v_mfma_f32_32x32x8_bf16 v[64:79], v[216:217], v[184:185], v[64:79]// 000000005BCC: D3E00040 050371D8
	v_mfma_f32_32x32x8_bf16 v[64:79], v[218:219], v[186:187], v[64:79]// 000000005BD4: D3E00040 050375DA
	v_mfma_f32_32x32x8_bf16 v[64:79], v[220:221], v[188:189], v[64:79]// 000000005BDC: D3E00040 050379DC
	v_exp_f32_e32 v80, v80                                     // 000000005BE4: 7EA04150
	v_exp_f32_e32 v81, v81                                     // 000000005BE8: 7EA24151
	v_exp_f32_e32 v82, v82                                     // 000000005BEC: 7EA44152
	v_exp_f32_e32 v83, v83                                     // 000000005BF0: 7EA64153
	v_exp_f32_e32 v84, v84                                     // 000000005BF4: 7EA84154
	v_exp_f32_e32 v85, v85                                     // 000000005BF8: 7EAA4155
	v_exp_f32_e32 v86, v86                                     // 000000005BFC: 7EAC4156
	v_exp_f32_e32 v87, v87                                     // 000000005C00: 7EAE4157
	v_exp_f32_e32 v88, v88                                     // 000000005C04: 7EB04158
	v_exp_f32_e32 v89, v89                                     // 000000005C08: 7EB24159
	v_exp_f32_e32 v90, v90                                     // 000000005C0C: 7EB4415A
	v_exp_f32_e32 v91, v91                                     // 000000005C10: 7EB6415B
	v_exp_f32_e32 v92, v92                                     // 000000005C14: 7EB8415C
	v_exp_f32_e32 v93, v93                                     // 000000005C18: 7EBA415D
	v_exp_f32_e32 v94, v94                                     // 000000005C1C: 7EBC415E
	v_exp_f32_e32 v95, v95                                     // 000000005C20: 7EBE415F
	v_mul_f32_e32 v22, v20, v22                                // 000000005C24: 0A2C2D14
	v_pk_add_f32 v[38:39], v[80:81], v[82:83]                  // 000000005C28: D3B24026 1802A550
	v_pk_add_f32 v[38:39], v[84:85], v[38:39]                  // 000000005C30: D3B24026 18024D54
	v_pk_add_f32 v[38:39], v[86:87], v[38:39]                  // 000000005C38: D3B24026 18024D56
	v_pk_add_f32 v[38:39], v[88:89], v[38:39]                  // 000000005C40: D3B24026 18024D58
	v_pk_add_f32 v[38:39], v[90:91], v[38:39]                  // 000000005C48: D3B24026 18024D5A
	v_pk_add_f32 v[38:39], v[92:93], v[38:39]                  // 000000005C50: D3B24026 18024D5C
	v_pk_add_f32 v[38:39], v[94:95], v[38:39]                  // 000000005C58: D3B24026 18024D5E
	v_add_f32_e32 v38, v38, v39                                // 000000005C60: 024C4F26
	v_add_f32_e32 v22, v38, v22                                // 000000005C64: 022C2D26
	v_cmp_u_f32_e64 s[70:71], v80, v80                         // 000000005C68: D0480046 0002A150
	v_bfe_u32 v40, v80, 16, 1                                  // 000000005C70: D1C80028 02052150
	v_add3_u32 v40, v80, v40, v43                              // 000000005C78: D1FF0028 04AE5150
	v_cndmask_b32_e64 v16, v40, v42, s[70:71]                  // 000000005C80: D1000010 011A5528
	v_lshrrev_b32_e32 v16, 16, v16                             // 000000005C88: 20202090
	v_cmp_u_f32_e64 s[70:71], v81, v81                         // 000000005C8C: D0480046 0002A351
	v_bfe_u32 v40, v81, 16, 1                                  // 000000005C94: D1C80028 02052151
	v_add3_u32 v40, v81, v40, v43                              // 000000005C9C: D1FF0028 04AE5151
	v_cndmask_b32_e64 v17, v40, v42, s[70:71]                  // 000000005CA4: D1000011 011A5528
	v_and_or_b32 v80, v17, v41, v16                            // 000000005CAC: D2010050 04425311
	v_cmp_u_f32_e64 s[70:71], v82, v82                         // 000000005CB4: D0480046 0002A552
	v_bfe_u32 v40, v82, 16, 1                                  // 000000005CBC: D1C80028 02052152
	v_add3_u32 v40, v82, v40, v43                              // 000000005CC4: D1FF0028 04AE5152
	v_cndmask_b32_e64 v16, v40, v42, s[70:71]                  // 000000005CCC: D1000010 011A5528
	v_lshrrev_b32_e32 v16, 16, v16                             // 000000005CD4: 20202090
	v_cmp_u_f32_e64 s[70:71], v83, v83                         // 000000005CD8: D0480046 0002A753
	v_bfe_u32 v40, v83, 16, 1                                  // 000000005CE0: D1C80028 02052153
	v_add3_u32 v40, v83, v40, v43                              // 000000005CE8: D1FF0028 04AE5153
	v_cndmask_b32_e64 v17, v40, v42, s[70:71]                  // 000000005CF0: D1000011 011A5528
	v_and_or_b32 v81, v17, v41, v16                            // 000000005CF8: D2010051 04425311
	v_cmp_u_f32_e64 s[70:71], v84, v84                         // 000000005D00: D0480046 0002A954
	v_bfe_u32 v40, v84, 16, 1                                  // 000000005D08: D1C80028 02052154
	v_add3_u32 v40, v84, v40, v43                              // 000000005D10: D1FF0028 04AE5154
	v_cndmask_b32_e64 v16, v40, v42, s[70:71]                  // 000000005D18: D1000010 011A5528
	v_lshrrev_b32_e32 v16, 16, v16                             // 000000005D20: 20202090
	v_cmp_u_f32_e64 s[70:71], v85, v85                         // 000000005D24: D0480046 0002AB55
	v_bfe_u32 v40, v85, 16, 1                                  // 000000005D2C: D1C80028 02052155
	v_add3_u32 v40, v85, v40, v43                              // 000000005D34: D1FF0028 04AE5155
	v_cndmask_b32_e64 v17, v40, v42, s[70:71]                  // 000000005D3C: D1000011 011A5528
	v_and_or_b32 v82, v17, v41, v16                            // 000000005D44: D2010052 04425311
	v_cmp_u_f32_e64 s[70:71], v86, v86                         // 000000005D4C: D0480046 0002AD56
	v_bfe_u32 v40, v86, 16, 1                                  // 000000005D54: D1C80028 02052156
	v_add3_u32 v40, v86, v40, v43                              // 000000005D5C: D1FF0028 04AE5156
	v_cndmask_b32_e64 v16, v40, v42, s[70:71]                  // 000000005D64: D1000010 011A5528
	v_lshrrev_b32_e32 v16, 16, v16                             // 000000005D6C: 20202090
	v_cmp_u_f32_e64 s[70:71], v87, v87                         // 000000005D70: D0480046 0002AF57
	v_bfe_u32 v40, v87, 16, 1                                  // 000000005D78: D1C80028 02052157
	v_add3_u32 v40, v87, v40, v43                              // 000000005D80: D1FF0028 04AE5157
	v_cndmask_b32_e64 v17, v40, v42, s[70:71]                  // 000000005D88: D1000011 011A5528
	v_and_or_b32 v83, v17, v41, v16                            // 000000005D90: D2010053 04425311
	v_cmp_u_f32_e64 s[70:71], v88, v88                         // 000000005D98: D0480046 0002B158
	v_bfe_u32 v40, v88, 16, 1                                  // 000000005DA0: D1C80028 02052158
	v_add3_u32 v40, v88, v40, v43                              // 000000005DA8: D1FF0028 04AE5158
	v_cndmask_b32_e64 v16, v40, v42, s[70:71]                  // 000000005DB0: D1000010 011A5528
	v_lshrrev_b32_e32 v16, 16, v16                             // 000000005DB8: 20202090
	v_cmp_u_f32_e64 s[70:71], v89, v89                         // 000000005DBC: D0480046 0002B359
	v_bfe_u32 v40, v89, 16, 1                                  // 000000005DC4: D1C80028 02052159
	v_add3_u32 v40, v89, v40, v43                              // 000000005DCC: D1FF0028 04AE5159
	v_cndmask_b32_e64 v17, v40, v42, s[70:71]                  // 000000005DD4: D1000011 011A5528
	v_and_or_b32 v84, v17, v41, v16                            // 000000005DDC: D2010054 04425311
	v_cmp_u_f32_e64 s[70:71], v90, v90                         // 000000005DE4: D0480046 0002B55A
	v_bfe_u32 v40, v90, 16, 1                                  // 000000005DEC: D1C80028 0205215A
	v_add3_u32 v40, v90, v40, v43                              // 000000005DF4: D1FF0028 04AE515A
	v_cndmask_b32_e64 v16, v40, v42, s[70:71]                  // 000000005DFC: D1000010 011A5528
	v_lshrrev_b32_e32 v16, 16, v16                             // 000000005E04: 20202090
	v_cmp_u_f32_e64 s[70:71], v91, v91                         // 000000005E08: D0480046 0002B75B
	v_bfe_u32 v40, v91, 16, 1                                  // 000000005E10: D1C80028 0205215B
	v_add3_u32 v40, v91, v40, v43                              // 000000005E18: D1FF0028 04AE515B
	v_cndmask_b32_e64 v17, v40, v42, s[70:71]                  // 000000005E20: D1000011 011A5528
	v_and_or_b32 v85, v17, v41, v16                            // 000000005E28: D2010055 04425311
	v_cmp_u_f32_e64 s[70:71], v92, v92                         // 000000005E30: D0480046 0002B95C
	v_bfe_u32 v40, v92, 16, 1                                  // 000000005E38: D1C80028 0205215C
	v_add3_u32 v40, v92, v40, v43                              // 000000005E40: D1FF0028 04AE515C
	v_cndmask_b32_e64 v16, v40, v42, s[70:71]                  // 000000005E48: D1000010 011A5528
	v_lshrrev_b32_e32 v16, 16, v16                             // 000000005E50: 20202090
	v_cmp_u_f32_e64 s[70:71], v93, v93                         // 000000005E54: D0480046 0002BB5D
	v_bfe_u32 v40, v93, 16, 1                                  // 000000005E5C: D1C80028 0205215D
	v_add3_u32 v40, v93, v40, v43                              // 000000005E64: D1FF0028 04AE515D
	v_cndmask_b32_e64 v17, v40, v42, s[70:71]                  // 000000005E6C: D1000011 011A5528
	v_and_or_b32 v86, v17, v41, v16                            // 000000005E74: D2010056 04425311
	v_cmp_u_f32_e64 s[70:71], v94, v94                         // 000000005E7C: D0480046 0002BD5E
	v_bfe_u32 v40, v94, 16, 1                                  // 000000005E84: D1C80028 0205215E
	v_add3_u32 v40, v94, v40, v43                              // 000000005E8C: D1FF0028 04AE515E
	v_cndmask_b32_e64 v16, v40, v42, s[70:71]                  // 000000005E94: D1000010 011A5528
	v_lshrrev_b32_e32 v16, 16, v16                             // 000000005E9C: 20202090
	v_cmp_u_f32_e64 s[70:71], v95, v95                         // 000000005EA0: D0480046 0002BF5F
	v_bfe_u32 v40, v95, 16, 1                                  // 000000005EA8: D1C80028 0205215F
	v_add3_u32 v40, v95, v40, v43                              // 000000005EB0: D1FF0028 04AE515F
	v_cndmask_b32_e64 v17, v40, v42, s[70:71]                  // 000000005EB8: D1000011 011A5528
	v_and_or_b32 v87, v17, v41, v16                            // 000000005EC0: D2010057 04425311
	v_mfma_f32_32x32x8_bf16 v[64:79], v[222:223], v[190:191], v[64:79]// 000000005EC8: D3E00040 05037DDE
	s_barrier                                                  // 000000005ED0: BF8A0000
	s_cmp_lt_i32 s52, s54                                      // 000000005ED4: BF043634
	s_cbranch_scc1 label_0B3A                                  // 000000005ED8: BF850043
	s_sub_i32 s40, s7, s52                                     // 000000005EDC: 81A83407
	v_sub_i32 v16, s40, v30                                    // 000000005EE0: D29D0010 00023C28
	v_cmp_lt_i32_e64 s[72:73], 0, v16                          // 000000005EE8: D0C10048 00022080
	v_cmp_lt_i32_e64 s[74:75], 1, v16                          // 000000005EF0: D0C1004A 00022081
	v_cndmask_b32_e64 v64, v31, v64, s[72:73]                  // 000000005EF8: D1000040 0122811F
	v_cndmask_b32_e64 v65, v31, v65, s[74:75]                  // 000000005F00: D1000041 012A831F
	v_cmp_lt_i32_e64 s[72:73], 2, v16                          // 000000005F08: D0C10048 00022082
	v_cmp_lt_i32_e64 s[74:75], 3, v16                          // 000000005F10: D0C1004A 00022083
	v_cndmask_b32_e64 v66, v31, v66, s[72:73]                  // 000000005F18: D1000042 0122851F
	v_cndmask_b32_e64 v67, v31, v67, s[74:75]                  // 000000005F20: D1000043 012A871F
	v_cmp_lt_i32_e64 s[72:73], 8, v16                          // 000000005F28: D0C10048 00022088
	v_cmp_lt_i32_e64 s[74:75], 9, v16                          // 000000005F30: D0C1004A 00022089
	v_cndmask_b32_e64 v68, v31, v68, s[72:73]                  // 000000005F38: D1000044 0122891F
	v_cndmask_b32_e64 v69, v31, v69, s[74:75]                  // 000000005F40: D1000045 012A8B1F
	v_cmp_lt_i32_e64 s[72:73], 10, v16                         // 000000005F48: D0C10048 0002208A
	v_cmp_lt_i32_e64 s[74:75], 11, v16                         // 000000005F50: D0C1004A 0002208B
	v_cndmask_b32_e64 v70, v31, v70, s[72:73]                  // 000000005F58: D1000046 01228D1F
	v_cndmask_b32_e64 v71, v31, v71, s[74:75]                  // 000000005F60: D1000047 012A8F1F
	v_cmp_lt_i32_e64 s[72:73], 16, v16                         // 000000005F68: D0C10048 00022090
	v_cmp_lt_i32_e64 s[74:75], 17, v16                         // 000000005F70: D0C1004A 00022091
	v_cndmask_b32_e64 v72, v31, v72, s[72:73]                  // 000000005F78: D1000048 0122911F
	v_cndmask_b32_e64 v73, v31, v73, s[74:75]                  // 000000005F80: D1000049 012A931F
	v_cmp_lt_i32_e64 s[72:73], 18, v16                         // 000000005F88: D0C10048 00022092
	v_cmp_lt_i32_e64 s[74:75], 19, v16                         // 000000005F90: D0C1004A 00022093
	v_cndmask_b32_e64 v74, v31, v74, s[72:73]                  // 000000005F98: D100004A 0122951F
	v_cndmask_b32_e64 v75, v31, v75, s[74:75]                  // 000000005FA0: D100004B 012A971F
	v_cmp_lt_i32_e64 s[72:73], 24, v16                         // 000000005FA8: D0C10048 00022098
	v_cmp_lt_i32_e64 s[74:75], 25, v16                         // 000000005FB0: D0C1004A 00022099
	v_cndmask_b32_e64 v76, v31, v76, s[72:73]                  // 000000005FB8: D100004C 0122991F
	v_cndmask_b32_e64 v77, v31, v77, s[74:75]                  // 000000005FC0: D100004D 012A9B1F
	v_cmp_lt_i32_e64 s[72:73], 26, v16                         // 000000005FC8: D0C10048 0002209A
	v_cmp_lt_i32_e64 s[74:75], 27, v16                         // 000000005FD0: D0C1004A 0002209B
	v_cndmask_b32_e64 v78, v31, v78, s[72:73]                  // 000000005FD8: D100004E 01229D1F
	v_cndmask_b32_e64 v79, v31, v79, s[74:75]                  // 000000005FE0: D100004F 012A9F1F

0000000000005fe8 <label_0B3A>:
	s_nop 0                                                    // 000000005FE8: BF800000
	s_mov_b32 m0, s68                                          // 000000005FEC: BEFC0044
	buffer_load_dword v4, s[12:15], s60 offen lds              // 000000005FF0: E0511000 3C030004
	s_add_u32 m0, 0x880, m0                                    // 000000005FF8: 807C7CFF 00000880
	buffer_load_dword v5, s[12:15], s60 offen lds              // 000000006000: E0511000 3C030005
	s_add_u32 m0, 0x880, m0                                    // 000000006008: 807C7CFF 00000880
	buffer_load_dword v6, s[12:15], s60 offen lds              // 000000006010: E0511000 3C030006
	s_add_u32 m0, 0x880, m0                                    // 000000006018: 807C7CFF 00000880
	buffer_load_dword v7, s[12:15], s60 offen lds              // 000000006020: E0511000 3C030007
	s_add_u32 m0, 0x880, m0                                    // 000000006028: 807C7CFF 00000880
	s_add_i32 s60, s43, s60                                    // 000000006030: 813C3C2B
	s_nop 0                                                    // 000000006034: BF800000
	s_add_u32 s40, 0x80, s39                                   // 000000006038: 802827FF 00000080
	s_nop 0                                                    // 000000006040: BF800000
	s_cmp_lt_u32 s40, s38                                      // 000000006044: BF0A2628
	s_cselect_b32 s43, s43, 0                                  // 000000006048: 852B802B
	s_nop 7                                                    // 00000000604C: BF800007
	ds_read_b64 v[192:193], v13 offset:17408                   // 000000006050: D8EC4400 C000000D
	ds_read_b64 v[194:195], v13 offset:18432                   // 000000006058: D8EC4800 C200000D
	ds_read_b64 v[196:197], v13 offset:19456                   // 000000006060: D8EC4C00 C400000D
	ds_read_b64 v[198:199], v13 offset:20480                   // 000000006068: D8EC5000 C600000D
	ds_read_b64 v[200:201], v13 offset:17536                   // 000000006070: D8EC4480 C800000D
	ds_read_b64 v[202:203], v13 offset:18560                   // 000000006078: D8EC4880 CA00000D
	ds_read_b64 v[204:205], v13 offset:19584                   // 000000006080: D8EC4C80 CC00000D
	ds_read_b64 v[206:207], v13 offset:20608                   // 000000006088: D8EC5080 CE00000D
	ds_read_b64 v[208:209], v13 offset:17664                   // 000000006090: D8EC4500 D000000D
	ds_read_b64 v[210:211], v13 offset:18688                   // 000000006098: D8EC4900 D200000D
	ds_read_b64 v[212:213], v13 offset:19712                   // 0000000060A0: D8EC4D00 D400000D
	ds_read_b64 v[214:215], v13 offset:20736                   // 0000000060A8: D8EC5100 D600000D
	ds_read_b64 v[216:217], v13 offset:17792                   // 0000000060B0: D8EC4580 D800000D
	ds_read_b64 v[218:219], v13 offset:18816                   // 0000000060B8: D8EC4980 DA00000D
	ds_read_b64 v[220:221], v13 offset:19840                   // 0000000060C0: D8EC4D80 DC00000D
	ds_read_b64 v[222:223], v13 offset:20864                   // 0000000060C8: D8EC5180 DE00000D
	s_nop 0                                                    // 0000000060D0: BF800000
	s_add_i32 s52, s52, s53                                    // 0000000060D4: 81343534
	s_addk_i32 s39, 0x20                                       // 0000000060D8: B7270020
	s_cmp_lt_i32 s39, s38                                      // 0000000060DC: BF042627
	s_waitcnt vmcnt(8) lgkmcnt(0)                              // 0000000060E0: BF8C0078
	s_barrier                                                  // 0000000060E4: BF8A0000
	v_max3_f32 v25, v64, v65, v28                              // 0000000060E8: D1D30019 04728340
	v_max3_f32 v25, v66, v67, v25                              // 0000000060F0: D1D30019 04668742
	v_max3_f32 v25, v68, v69, v25                              // 0000000060F8: D1D30019 04668B44
	v_max3_f32 v25, v70, v71, v25                              // 000000006100: D1D30019 04668F46
	v_max3_f32 v25, v72, v73, v25                              // 000000006108: D1D30019 04669348
	v_max3_f32 v25, v74, v75, v25                              // 000000006110: D1D30019 0466974A
	v_max3_f32 v25, v76, v77, v25                              // 000000006118: D1D30019 04669B4C
	v_max3_f32 v25, v78, v79, v25                              // 000000006120: D1D30019 04669F4E
	v_mfma_f32_32x32x8_bf16 v[96:111], v[192:193], v[80:81], v[96:111]// 000000006128: D3E00060 0582A1C0
	ds_permute_b32 v24, v32, v25                               // 000000006130: D87C0000 18001920
	v_mfma_f32_32x32x8_bf16 v[96:111], v[194:195], v[82:83], v[96:111]// 000000006138: D3E00060 0582A5C2
	v_mfma_f32_32x32x8_bf16 v[96:111], v[196:197], v[84:85], v[96:111]// 000000006140: D3E00060 0582A9C4
	v_mfma_f32_32x32x8_bf16 v[96:111], v[198:199], v[86:87], v[96:111]// 000000006148: D3E00060 0582ADC6
	v_mfma_f32_32x32x8_bf16 v[112:127], v[200:201], v[80:81], v[112:127]// 000000006150: D3E00070 05C2A1C8
	v_mfma_f32_32x32x8_bf16 v[112:127], v[202:203], v[82:83], v[112:127]// 000000006158: D3E00070 05C2A5CA
	v_mfma_f32_32x32x8_bf16 v[112:127], v[204:205], v[84:85], v[112:127]// 000000006160: D3E00070 05C2A9CC
	v_mfma_f32_32x32x8_bf16 v[112:127], v[206:207], v[86:87], v[112:127]// 000000006168: D3E00070 05C2ADCE
	v_mfma_f32_32x32x8_bf16 v[128:143], v[208:209], v[80:81], v[128:143]// 000000006170: D3E00080 0602A1D0
	s_waitcnt lgkmcnt(0)                                       // 000000006178: BF8CC07F
	v_mfma_f32_32x32x8_bf16 v[128:143], v[210:211], v[82:83], v[128:143]// 00000000617C: D3E00080 0602A5D2
	v_mfma_f32_32x32x8_bf16 v[128:143], v[212:213], v[84:85], v[128:143]// 000000006184: D3E00080 0602A9D4
	v_mfma_f32_32x32x8_bf16 v[128:143], v[214:215], v[86:87], v[128:143]// 00000000618C: D3E00080 0602ADD6
	v_mfma_f32_32x32x8_bf16 v[144:159], v[216:217], v[80:81], v[144:159]// 000000006194: D3E00090 0642A1D8
	v_mfma_f32_32x32x8_bf16 v[144:159], v[218:219], v[82:83], v[144:159]// 00000000619C: D3E00090 0642A5DA
	v_mfma_f32_32x32x8_bf16 v[144:159], v[220:221], v[84:85], v[144:159]// 0000000061A4: D3E00090 0642A9DC
	v_mfma_f32_32x32x8_bf16 v[144:159], v[222:223], v[86:87], v[144:159]// 0000000061AC: D3E00090 0642ADDE
	v_max_f32_e32 v25, v24, v25                                // 0000000061B4: 16323318
	v_sub_f32_e32 v20, v28, v25                                // 0000000061B8: 0428331C
	v_mov_b32_e32 v28, v25                                     // 0000000061BC: 7E380319
	v_mul_f32_e32 v27, s56, v25                                // 0000000061C0: 0A363238
	v_mul_f32_e32 v20, s56, v20                                // 0000000061C4: 0A282838
	v_exp_f32_e32 v20, v20                                     // 0000000061C8: 7E284114
	v_add_f32_e64 v36, 0, -v27                                 // 0000000061CC: D1010024 40023680
	v_mov_b32_e32 v37, v36                                     // 0000000061D4: 7E4A0324
	v_pk_fma_f32 v[64:65], v[64:65], s[56:57], v[36:37]        // 0000000061D8: D3B04040 1C907140
	v_pk_fma_f32 v[66:67], v[66:67], s[56:57], v[36:37]        // 0000000061E0: D3B04042 1C907142
	v_pk_fma_f32 v[68:69], v[68:69], s[56:57], v[36:37]        // 0000000061E8: D3B04044 1C907144
	v_pk_fma_f32 v[70:71], v[70:71], s[56:57], v[36:37]        // 0000000061F0: D3B04046 1C907146
	v_pk_fma_f32 v[72:73], v[72:73], s[56:57], v[36:37]        // 0000000061F8: D3B04048 1C907148
	v_pk_fma_f32 v[74:75], v[74:75], s[56:57], v[36:37]        // 000000006200: D3B0404A 1C90714A
	v_pk_fma_f32 v[76:77], v[76:77], s[56:57], v[36:37]        // 000000006208: D3B0404C 1C90714C
	v_pk_fma_f32 v[78:79], v[78:79], s[56:57], v[36:37]        // 000000006210: D3B0404E 1C90714E
	v_nop                                                      // 000000006218: 7E000000
	v_mov_b32_e32 v21, v20                                     // 00000000621C: 7E2A0314
	v_mul_f32_e32 v96, v20, v96                                // 000000006220: 0AC0C114
	v_mul_f32_e32 v97, v20, v97                                // 000000006224: 0AC2C314
	v_pk_mul_f32 v[98:99], v[20:21], v[98:99]                  // 000000006228: D3B14062 1802C514
	v_pk_mul_f32 v[100:101], v[20:21], v[100:101]              // 000000006230: D3B14064 1802C914
	v_pk_mul_f32 v[102:103], v[20:21], v[102:103]              // 000000006238: D3B14066 1802CD14
	v_pk_mul_f32 v[104:105], v[20:21], v[104:105]              // 000000006240: D3B14068 1802D114
	v_pk_mul_f32 v[106:107], v[20:21], v[106:107]              // 000000006248: D3B1406A 1802D514
	v_pk_mul_f32 v[108:109], v[20:21], v[108:109]              // 000000006250: D3B1406C 1802D914
	v_pk_mul_f32 v[110:111], v[20:21], v[110:111]              // 000000006258: D3B1406E 1802DD14
	v_pk_mul_f32 v[112:113], v[20:21], v[112:113]              // 000000006260: D3B14070 1802E114
	v_pk_mul_f32 v[114:115], v[20:21], v[114:115]              // 000000006268: D3B14072 1802E514
	v_pk_mul_f32 v[116:117], v[20:21], v[116:117]              // 000000006270: D3B14074 1802E914
	v_pk_mul_f32 v[118:119], v[20:21], v[118:119]              // 000000006278: D3B14076 1802ED14
	v_pk_mul_f32 v[120:121], v[20:21], v[120:121]              // 000000006280: D3B14078 1802F114
	v_pk_mul_f32 v[122:123], v[20:21], v[122:123]              // 000000006288: D3B1407A 1802F514
	v_pk_mul_f32 v[124:125], v[20:21], v[124:125]              // 000000006290: D3B1407C 1802F914
	v_pk_mul_f32 v[126:127], v[20:21], v[126:127]              // 000000006298: D3B1407E 1802FD14
	v_pk_mul_f32 v[128:129], v[20:21], v[128:129]              // 0000000062A0: D3B14080 18030114
	v_pk_mul_f32 v[130:131], v[20:21], v[130:131]              // 0000000062A8: D3B14082 18030514
	v_pk_mul_f32 v[132:133], v[20:21], v[132:133]              // 0000000062B0: D3B14084 18030914
	v_pk_mul_f32 v[134:135], v[20:21], v[134:135]              // 0000000062B8: D3B14086 18030D14
	v_pk_mul_f32 v[136:137], v[20:21], v[136:137]              // 0000000062C0: D3B14088 18031114
	v_pk_mul_f32 v[138:139], v[20:21], v[138:139]              // 0000000062C8: D3B1408A 18031514
	v_pk_mul_f32 v[140:141], v[20:21], v[140:141]              // 0000000062D0: D3B1408C 18031914
	v_pk_mul_f32 v[142:143], v[20:21], v[142:143]              // 0000000062D8: D3B1408E 18031D14
	v_pk_mul_f32 v[144:145], v[20:21], v[144:145]              // 0000000062E0: D3B14090 18032114
	v_pk_mul_f32 v[146:147], v[20:21], v[146:147]              // 0000000062E8: D3B14092 18032514
	v_pk_mul_f32 v[148:149], v[20:21], v[148:149]              // 0000000062F0: D3B14094 18032914
	v_pk_mul_f32 v[150:151], v[20:21], v[150:151]              // 0000000062F8: D3B14096 18032D14
	v_pk_mul_f32 v[152:153], v[20:21], v[152:153]              // 000000006300: D3B14098 18033114
	v_pk_mul_f32 v[154:155], v[20:21], v[154:155]              // 000000006308: D3B1409A 18033514
	v_pk_mul_f32 v[156:157], v[20:21], v[156:157]              // 000000006310: D3B1409C 18033914
	v_pk_mul_f32 v[158:159], v[20:21], v[158:159]              // 000000006318: D3B1409E 18033D14
	s_cbranch_scc0 label_0C0A                                  // 000000006320: BF840001
	s_branch label_07CE                                        // 000000006324: BF82FBC4

0000000000006328 <label_0C0A>:
	s_add_u32 s40, s38, 31                                     // 000000006328: 80289F26
	s_lshr_b32 s40, s40, 5                                     // 00000000632C: 8F288528
	s_and_b32 s40, 1, s40                                      // 000000006330: 86282881
	s_cmp_lt_i32 s40, 1                                        // 000000006334: BF048128
	s_cbranch_scc0 label_0D1A                                  // 000000006338: BF84010B
	s_waitcnt vmcnt(4)                                         // 00000000633C: BF8C0F74
	s_barrier                                                  // 000000006340: BF8A0000
	v_perm_b32 v232, v229, v228, s50                           // 000000006344: D1ED00E8 00CBC9E5
	v_perm_b32 v234, v229, v228, s49                           // 00000000634C: D1ED00EA 00C7C9E5
	v_perm_b32 v233, v231, v230, s50                           // 000000006354: D1ED00E9 00CBCDE7
	v_perm_b32 v235, v231, v230, s49                           // 00000000635C: D1ED00EB 00C7CDE7
	ds_write_b64 v14, v[232:233] offset:17408                  // 000000006364: D89A4400 0000E80E
	ds_write_b64 v14, v[234:235] offset:21568                  // 00000000636C: D89A5440 0000EA0E
	s_waitcnt lgkmcnt(0)                                       // 000000006374: BF8CC07F
	s_barrier                                                  // 000000006378: BF8A0000
	ds_read_b64 v[192:193], v13 offset:17408                   // 00000000637C: D8EC4400 C000000D
	ds_read_b64 v[194:195], v13 offset:18432                   // 000000006384: D8EC4800 C200000D
	ds_read_b64 v[196:197], v13 offset:19456                   // 00000000638C: D8EC4C00 C400000D
	ds_read_b64 v[198:199], v13 offset:20480                   // 000000006394: D8EC5000 C600000D
	ds_read_b64 v[200:201], v13 offset:17536                   // 00000000639C: D8EC4480 C800000D
	ds_read_b64 v[202:203], v13 offset:18560                   // 0000000063A4: D8EC4880 CA00000D
	ds_read_b64 v[204:205], v13 offset:19584                   // 0000000063AC: D8EC4C80 CC00000D
	ds_read_b64 v[206:207], v13 offset:20608                   // 0000000063B4: D8EC5080 CE00000D
	ds_read_b64 v[208:209], v13 offset:17664                   // 0000000063BC: D8EC4500 D000000D
	ds_read_b64 v[210:211], v13 offset:18688                   // 0000000063C4: D8EC4900 D200000D
	ds_read_b64 v[212:213], v13 offset:19712                   // 0000000063CC: D8EC4D00 D400000D
	ds_read_b64 v[214:215], v13 offset:20736                   // 0000000063D4: D8EC5100 D600000D
	ds_read_b64 v[216:217], v13 offset:17792                   // 0000000063DC: D8EC4580 D800000D
	ds_read_b64 v[218:219], v13 offset:18816                   // 0000000063E4: D8EC4980 DA00000D
	ds_read_b64 v[220:221], v13 offset:19840                   // 0000000063EC: D8EC4D80 DC00000D
	ds_read_b64 v[222:223], v13 offset:20864                   // 0000000063F4: D8EC5180 DE00000D
	v_exp_f32_e32 v80, v80                                     // 0000000063FC: 7EA04150
	v_exp_f32_e32 v81, v81                                     // 000000006400: 7EA24151
	v_exp_f32_e32 v82, v82                                     // 000000006404: 7EA44152
	v_exp_f32_e32 v83, v83                                     // 000000006408: 7EA64153
	v_exp_f32_e32 v84, v84                                     // 00000000640C: 7EA84154
	v_exp_f32_e32 v85, v85                                     // 000000006410: 7EAA4155
	v_exp_f32_e32 v86, v86                                     // 000000006414: 7EAC4156
	v_exp_f32_e32 v87, v87                                     // 000000006418: 7EAE4157
	v_exp_f32_e32 v88, v88                                     // 00000000641C: 7EB04158
	v_exp_f32_e32 v89, v89                                     // 000000006420: 7EB24159
	v_exp_f32_e32 v90, v90                                     // 000000006424: 7EB4415A
	v_exp_f32_e32 v91, v91                                     // 000000006428: 7EB6415B
	v_exp_f32_e32 v92, v92                                     // 00000000642C: 7EB8415C
	v_exp_f32_e32 v93, v93                                     // 000000006430: 7EBA415D
	v_exp_f32_e32 v94, v94                                     // 000000006434: 7EBC415E
	v_exp_f32_e32 v95, v95                                     // 000000006438: 7EBE415F
	v_mul_f32_e32 v22, v20, v22                                // 00000000643C: 0A2C2D14
	v_pk_add_f32 v[38:39], v[80:81], v[82:83]                  // 000000006440: D3B24026 1802A550
	v_pk_add_f32 v[38:39], v[84:85], v[38:39]                  // 000000006448: D3B24026 18024D54
	v_pk_add_f32 v[38:39], v[86:87], v[38:39]                  // 000000006450: D3B24026 18024D56
	v_pk_add_f32 v[38:39], v[88:89], v[38:39]                  // 000000006458: D3B24026 18024D58
	v_pk_add_f32 v[38:39], v[90:91], v[38:39]                  // 000000006460: D3B24026 18024D5A
	v_pk_add_f32 v[38:39], v[92:93], v[38:39]                  // 000000006468: D3B24026 18024D5C
	v_pk_add_f32 v[38:39], v[94:95], v[38:39]                  // 000000006470: D3B24026 18024D5E
	v_add_f32_e32 v38, v38, v39                                // 000000006478: 024C4F26
	v_add_f32_e32 v22, v38, v22                                // 00000000647C: 022C2D26
	v_cmp_u_f32_e64 s[70:71], v80, v80                         // 000000006480: D0480046 0002A150
	v_bfe_u32 v40, v80, 16, 1                                  // 000000006488: D1C80028 02052150
	v_add3_u32 v40, v80, v40, v43                              // 000000006490: D1FF0028 04AE5150
	v_cndmask_b32_e64 v16, v40, v42, s[70:71]                  // 000000006498: D1000010 011A5528
	v_lshrrev_b32_e32 v16, 16, v16                             // 0000000064A0: 20202090
	v_cmp_u_f32_e64 s[70:71], v81, v81                         // 0000000064A4: D0480046 0002A351
	v_bfe_u32 v40, v81, 16, 1                                  // 0000000064AC: D1C80028 02052151
	v_add3_u32 v40, v81, v40, v43                              // 0000000064B4: D1FF0028 04AE5151
	v_cndmask_b32_e64 v17, v40, v42, s[70:71]                  // 0000000064BC: D1000011 011A5528
	v_and_or_b32 v80, v17, v41, v16                            // 0000000064C4: D2010050 04425311
	v_cmp_u_f32_e64 s[70:71], v82, v82                         // 0000000064CC: D0480046 0002A552
	v_bfe_u32 v40, v82, 16, 1                                  // 0000000064D4: D1C80028 02052152
	v_add3_u32 v40, v82, v40, v43                              // 0000000064DC: D1FF0028 04AE5152
	v_cndmask_b32_e64 v16, v40, v42, s[70:71]                  // 0000000064E4: D1000010 011A5528
	v_lshrrev_b32_e32 v16, 16, v16                             // 0000000064EC: 20202090
	v_cmp_u_f32_e64 s[70:71], v83, v83                         // 0000000064F0: D0480046 0002A753
	v_bfe_u32 v40, v83, 16, 1                                  // 0000000064F8: D1C80028 02052153
	v_add3_u32 v40, v83, v40, v43                              // 000000006500: D1FF0028 04AE5153
	v_cndmask_b32_e64 v17, v40, v42, s[70:71]                  // 000000006508: D1000011 011A5528
	v_and_or_b32 v81, v17, v41, v16                            // 000000006510: D2010051 04425311
	v_cmp_u_f32_e64 s[70:71], v84, v84                         // 000000006518: D0480046 0002A954
	v_bfe_u32 v40, v84, 16, 1                                  // 000000006520: D1C80028 02052154
	v_add3_u32 v40, v84, v40, v43                              // 000000006528: D1FF0028 04AE5154
	v_cndmask_b32_e64 v16, v40, v42, s[70:71]                  // 000000006530: D1000010 011A5528
	v_lshrrev_b32_e32 v16, 16, v16                             // 000000006538: 20202090
	v_cmp_u_f32_e64 s[70:71], v85, v85                         // 00000000653C: D0480046 0002AB55
	v_bfe_u32 v40, v85, 16, 1                                  // 000000006544: D1C80028 02052155
	v_add3_u32 v40, v85, v40, v43                              // 00000000654C: D1FF0028 04AE5155
	v_cndmask_b32_e64 v17, v40, v42, s[70:71]                  // 000000006554: D1000011 011A5528
	v_and_or_b32 v82, v17, v41, v16                            // 00000000655C: D2010052 04425311
	v_cmp_u_f32_e64 s[70:71], v86, v86                         // 000000006564: D0480046 0002AD56
	v_bfe_u32 v40, v86, 16, 1                                  // 00000000656C: D1C80028 02052156
	v_add3_u32 v40, v86, v40, v43                              // 000000006574: D1FF0028 04AE5156
	v_cndmask_b32_e64 v16, v40, v42, s[70:71]                  // 00000000657C: D1000010 011A5528
	v_lshrrev_b32_e32 v16, 16, v16                             // 000000006584: 20202090
	v_cmp_u_f32_e64 s[70:71], v87, v87                         // 000000006588: D0480046 0002AF57
	v_bfe_u32 v40, v87, 16, 1                                  // 000000006590: D1C80028 02052157
	v_add3_u32 v40, v87, v40, v43                              // 000000006598: D1FF0028 04AE5157
	v_cndmask_b32_e64 v17, v40, v42, s[70:71]                  // 0000000065A0: D1000011 011A5528
	v_and_or_b32 v83, v17, v41, v16                            // 0000000065A8: D2010053 04425311
	v_cmp_u_f32_e64 s[70:71], v88, v88                         // 0000000065B0: D0480046 0002B158
	v_bfe_u32 v40, v88, 16, 1                                  // 0000000065B8: D1C80028 02052158
	v_add3_u32 v40, v88, v40, v43                              // 0000000065C0: D1FF0028 04AE5158
	v_cndmask_b32_e64 v16, v40, v42, s[70:71]                  // 0000000065C8: D1000010 011A5528
	v_lshrrev_b32_e32 v16, 16, v16                             // 0000000065D0: 20202090
	v_cmp_u_f32_e64 s[70:71], v89, v89                         // 0000000065D4: D0480046 0002B359
	v_bfe_u32 v40, v89, 16, 1                                  // 0000000065DC: D1C80028 02052159
	v_add3_u32 v40, v89, v40, v43                              // 0000000065E4: D1FF0028 04AE5159
	v_cndmask_b32_e64 v17, v40, v42, s[70:71]                  // 0000000065EC: D1000011 011A5528
	v_and_or_b32 v84, v17, v41, v16                            // 0000000065F4: D2010054 04425311
	v_cmp_u_f32_e64 s[70:71], v90, v90                         // 0000000065FC: D0480046 0002B55A
	v_bfe_u32 v40, v90, 16, 1                                  // 000000006604: D1C80028 0205215A
	v_add3_u32 v40, v90, v40, v43                              // 00000000660C: D1FF0028 04AE515A
	v_cndmask_b32_e64 v16, v40, v42, s[70:71]                  // 000000006614: D1000010 011A5528
	v_lshrrev_b32_e32 v16, 16, v16                             // 00000000661C: 20202090
	v_cmp_u_f32_e64 s[70:71], v91, v91                         // 000000006620: D0480046 0002B75B
	v_bfe_u32 v40, v91, 16, 1                                  // 000000006628: D1C80028 0205215B
	v_add3_u32 v40, v91, v40, v43                              // 000000006630: D1FF0028 04AE515B
	v_cndmask_b32_e64 v17, v40, v42, s[70:71]                  // 000000006638: D1000011 011A5528
	v_and_or_b32 v85, v17, v41, v16                            // 000000006640: D2010055 04425311
	v_cmp_u_f32_e64 s[70:71], v92, v92                         // 000000006648: D0480046 0002B95C
	v_bfe_u32 v40, v92, 16, 1                                  // 000000006650: D1C80028 0205215C
	v_add3_u32 v40, v92, v40, v43                              // 000000006658: D1FF0028 04AE515C
	v_cndmask_b32_e64 v16, v40, v42, s[70:71]                  // 000000006660: D1000010 011A5528
	v_lshrrev_b32_e32 v16, 16, v16                             // 000000006668: 20202090
	v_cmp_u_f32_e64 s[70:71], v93, v93                         // 00000000666C: D0480046 0002BB5D
	v_bfe_u32 v40, v93, 16, 1                                  // 000000006674: D1C80028 0205215D
	v_add3_u32 v40, v93, v40, v43                              // 00000000667C: D1FF0028 04AE515D
	v_cndmask_b32_e64 v17, v40, v42, s[70:71]                  // 000000006684: D1000011 011A5528
	v_and_or_b32 v86, v17, v41, v16                            // 00000000668C: D2010056 04425311
	v_cmp_u_f32_e64 s[70:71], v94, v94                         // 000000006694: D0480046 0002BD5E
	v_bfe_u32 v40, v94, 16, 1                                  // 00000000669C: D1C80028 0205215E
	v_add3_u32 v40, v94, v40, v43                              // 0000000066A4: D1FF0028 04AE515E
	v_cndmask_b32_e64 v16, v40, v42, s[70:71]                  // 0000000066AC: D1000010 011A5528
	v_lshrrev_b32_e32 v16, 16, v16                             // 0000000066B4: 20202090
	v_cmp_u_f32_e64 s[70:71], v95, v95                         // 0000000066B8: D0480046 0002BF5F
	v_bfe_u32 v40, v95, 16, 1                                  // 0000000066C0: D1C80028 0205215F
	v_add3_u32 v40, v95, v40, v43                              // 0000000066C8: D1FF0028 04AE515F
	v_cndmask_b32_e64 v17, v40, v42, s[70:71]                  // 0000000066D0: D1000011 011A5528
	v_and_or_b32 v87, v17, v41, v16                            // 0000000066D8: D2010057 04425311
	s_waitcnt lgkmcnt(0)                                       // 0000000066E0: BF8CC07F
	v_mfma_f32_32x32x8_bf16 v[96:111], v[192:193], v[80:81], v[96:111]// 0000000066E4: D3E00060 0582A1C0
	v_mfma_f32_32x32x8_bf16 v[96:111], v[194:195], v[82:83], v[96:111]// 0000000066EC: D3E00060 0582A5C2
	v_mfma_f32_32x32x8_bf16 v[96:111], v[196:197], v[84:85], v[96:111]// 0000000066F4: D3E00060 0582A9C4
	v_mfma_f32_32x32x8_bf16 v[96:111], v[198:199], v[86:87], v[96:111]// 0000000066FC: D3E00060 0582ADC6
	v_mfma_f32_32x32x8_bf16 v[112:127], v[200:201], v[80:81], v[112:127]// 000000006704: D3E00070 05C2A1C8
	v_mfma_f32_32x32x8_bf16 v[112:127], v[202:203], v[82:83], v[112:127]// 00000000670C: D3E00070 05C2A5CA
	v_mfma_f32_32x32x8_bf16 v[112:127], v[204:205], v[84:85], v[112:127]// 000000006714: D3E00070 05C2A9CC
	v_mfma_f32_32x32x8_bf16 v[112:127], v[206:207], v[86:87], v[112:127]// 00000000671C: D3E00070 05C2ADCE
	v_mfma_f32_32x32x8_bf16 v[128:143], v[208:209], v[80:81], v[128:143]// 000000006724: D3E00080 0602A1D0
	v_mfma_f32_32x32x8_bf16 v[128:143], v[210:211], v[82:83], v[128:143]// 00000000672C: D3E00080 0602A5D2
	v_mfma_f32_32x32x8_bf16 v[128:143], v[212:213], v[84:85], v[128:143]// 000000006734: D3E00080 0602A9D4
	v_mfma_f32_32x32x8_bf16 v[128:143], v[214:215], v[86:87], v[128:143]// 00000000673C: D3E00080 0602ADD6
	v_mfma_f32_32x32x8_bf16 v[144:159], v[216:217], v[80:81], v[144:159]// 000000006744: D3E00090 0642A1D8
	v_mfma_f32_32x32x8_bf16 v[144:159], v[218:219], v[82:83], v[144:159]// 00000000674C: D3E00090 0642A5DA
	v_mfma_f32_32x32x8_bf16 v[144:159], v[220:221], v[84:85], v[144:159]// 000000006754: D3E00090 0642A9DC
	v_mfma_f32_32x32x8_bf16 v[144:159], v[222:223], v[86:87], v[144:159]// 00000000675C: D3E00090 0642ADDE
	s_branch label_0E24                                        // 000000006764: BF82010A

0000000000006768 <label_0D1A>:
	s_waitcnt vmcnt(4)                                         // 000000006768: BF8C0F74
	s_barrier                                                  // 00000000676C: BF8A0000
	v_perm_b32 v232, v225, v224, s50                           // 000000006770: D1ED00E8 00CBC1E1
	v_perm_b32 v234, v225, v224, s49                           // 000000006778: D1ED00EA 00C7C1E1
	v_perm_b32 v233, v227, v226, s50                           // 000000006780: D1ED00E9 00CBC5E3
	v_perm_b32 v235, v227, v226, s49                           // 000000006788: D1ED00EB 00C7C5E3
	ds_write_b64 v14, v[232:233] offset:17408                  // 000000006790: D89A4400 0000E80E
	ds_write_b64 v14, v[234:235] offset:21568                  // 000000006798: D89A5440 0000EA0E
	s_waitcnt lgkmcnt(0)                                       // 0000000067A0: BF8CC07F
	s_barrier                                                  // 0000000067A4: BF8A0000
	ds_read_b64 v[192:193], v13 offset:17408                   // 0000000067A8: D8EC4400 C000000D
	ds_read_b64 v[194:195], v13 offset:18432                   // 0000000067B0: D8EC4800 C200000D
	ds_read_b64 v[196:197], v13 offset:19456                   // 0000000067B8: D8EC4C00 C400000D
	ds_read_b64 v[198:199], v13 offset:20480                   // 0000000067C0: D8EC5000 C600000D
	ds_read_b64 v[200:201], v13 offset:17536                   // 0000000067C8: D8EC4480 C800000D
	ds_read_b64 v[202:203], v13 offset:18560                   // 0000000067D0: D8EC4880 CA00000D
	ds_read_b64 v[204:205], v13 offset:19584                   // 0000000067D8: D8EC4C80 CC00000D
	ds_read_b64 v[206:207], v13 offset:20608                   // 0000000067E0: D8EC5080 CE00000D
	ds_read_b64 v[208:209], v13 offset:17664                   // 0000000067E8: D8EC4500 D000000D
	ds_read_b64 v[210:211], v13 offset:18688                   // 0000000067F0: D8EC4900 D200000D
	ds_read_b64 v[212:213], v13 offset:19712                   // 0000000067F8: D8EC4D00 D400000D
	ds_read_b64 v[214:215], v13 offset:20736                   // 000000006800: D8EC5100 D600000D
	ds_read_b64 v[216:217], v13 offset:17792                   // 000000006808: D8EC4580 D800000D
	ds_read_b64 v[218:219], v13 offset:18816                   // 000000006810: D8EC4980 DA00000D
	ds_read_b64 v[220:221], v13 offset:19840                   // 000000006818: D8EC4D80 DC00000D
	ds_read_b64 v[222:223], v13 offset:20864                   // 000000006820: D8EC5180 DE00000D
	v_exp_f32_e32 v64, v64                                     // 000000006828: 7E804140
	v_exp_f32_e32 v65, v65                                     // 00000000682C: 7E824141
	v_exp_f32_e32 v66, v66                                     // 000000006830: 7E844142
	v_exp_f32_e32 v67, v67                                     // 000000006834: 7E864143
	v_exp_f32_e32 v68, v68                                     // 000000006838: 7E884144
	v_exp_f32_e32 v69, v69                                     // 00000000683C: 7E8A4145
	v_exp_f32_e32 v70, v70                                     // 000000006840: 7E8C4146
	v_exp_f32_e32 v71, v71                                     // 000000006844: 7E8E4147
	v_exp_f32_e32 v72, v72                                     // 000000006848: 7E904148
	v_exp_f32_e32 v73, v73                                     // 00000000684C: 7E924149
	v_exp_f32_e32 v74, v74                                     // 000000006850: 7E94414A
	v_exp_f32_e32 v75, v75                                     // 000000006854: 7E96414B
	v_exp_f32_e32 v76, v76                                     // 000000006858: 7E98414C
	v_exp_f32_e32 v77, v77                                     // 00000000685C: 7E9A414D
	v_exp_f32_e32 v78, v78                                     // 000000006860: 7E9C414E
	v_exp_f32_e32 v79, v79                                     // 000000006864: 7E9E414F
	v_mul_f32_e32 v22, v20, v22                                // 000000006868: 0A2C2D14
	v_pk_add_f32 v[38:39], v[64:65], v[66:67]                  // 00000000686C: D3B24026 18028540
	v_pk_add_f32 v[38:39], v[68:69], v[38:39]                  // 000000006874: D3B24026 18024D44
	v_pk_add_f32 v[38:39], v[70:71], v[38:39]                  // 00000000687C: D3B24026 18024D46
	v_pk_add_f32 v[38:39], v[72:73], v[38:39]                  // 000000006884: D3B24026 18024D48
	v_pk_add_f32 v[38:39], v[74:75], v[38:39]                  // 00000000688C: D3B24026 18024D4A
	v_pk_add_f32 v[38:39], v[76:77], v[38:39]                  // 000000006894: D3B24026 18024D4C
	v_pk_add_f32 v[38:39], v[78:79], v[38:39]                  // 00000000689C: D3B24026 18024D4E
	v_add_f32_e32 v38, v38, v39                                // 0000000068A4: 024C4F26
	v_add_f32_e32 v22, v38, v22                                // 0000000068A8: 022C2D26
	v_cmp_u_f32_e64 s[70:71], v64, v64                         // 0000000068AC: D0480046 00028140
	v_bfe_u32 v40, v64, 16, 1                                  // 0000000068B4: D1C80028 02052140
	v_add3_u32 v40, v64, v40, v43                              // 0000000068BC: D1FF0028 04AE5140
	v_cndmask_b32_e64 v16, v40, v42, s[70:71]                  // 0000000068C4: D1000010 011A5528
	v_lshrrev_b32_e32 v16, 16, v16                             // 0000000068CC: 20202090
	v_cmp_u_f32_e64 s[70:71], v65, v65                         // 0000000068D0: D0480046 00028341
	v_bfe_u32 v40, v65, 16, 1                                  // 0000000068D8: D1C80028 02052141
	v_add3_u32 v40, v65, v40, v43                              // 0000000068E0: D1FF0028 04AE5141
	v_cndmask_b32_e64 v17, v40, v42, s[70:71]                  // 0000000068E8: D1000011 011A5528
	v_and_or_b32 v64, v17, v41, v16                            // 0000000068F0: D2010040 04425311
	v_cmp_u_f32_e64 s[70:71], v66, v66                         // 0000000068F8: D0480046 00028542
	v_bfe_u32 v40, v66, 16, 1                                  // 000000006900: D1C80028 02052142
	v_add3_u32 v40, v66, v40, v43                              // 000000006908: D1FF0028 04AE5142
	v_cndmask_b32_e64 v16, v40, v42, s[70:71]                  // 000000006910: D1000010 011A5528
	v_lshrrev_b32_e32 v16, 16, v16                             // 000000006918: 20202090
	v_cmp_u_f32_e64 s[70:71], v67, v67                         // 00000000691C: D0480046 00028743
	v_bfe_u32 v40, v67, 16, 1                                  // 000000006924: D1C80028 02052143
	v_add3_u32 v40, v67, v40, v43                              // 00000000692C: D1FF0028 04AE5143
	v_cndmask_b32_e64 v17, v40, v42, s[70:71]                  // 000000006934: D1000011 011A5528
	v_and_or_b32 v65, v17, v41, v16                            // 00000000693C: D2010041 04425311
	v_cmp_u_f32_e64 s[70:71], v68, v68                         // 000000006944: D0480046 00028944
	v_bfe_u32 v40, v68, 16, 1                                  // 00000000694C: D1C80028 02052144
	v_add3_u32 v40, v68, v40, v43                              // 000000006954: D1FF0028 04AE5144
	v_cndmask_b32_e64 v16, v40, v42, s[70:71]                  // 00000000695C: D1000010 011A5528
	v_lshrrev_b32_e32 v16, 16, v16                             // 000000006964: 20202090
	v_cmp_u_f32_e64 s[70:71], v69, v69                         // 000000006968: D0480046 00028B45
	v_bfe_u32 v40, v69, 16, 1                                  // 000000006970: D1C80028 02052145
	v_add3_u32 v40, v69, v40, v43                              // 000000006978: D1FF0028 04AE5145
	v_cndmask_b32_e64 v17, v40, v42, s[70:71]                  // 000000006980: D1000011 011A5528
	v_and_or_b32 v66, v17, v41, v16                            // 000000006988: D2010042 04425311
	v_cmp_u_f32_e64 s[70:71], v70, v70                         // 000000006990: D0480046 00028D46
	v_bfe_u32 v40, v70, 16, 1                                  // 000000006998: D1C80028 02052146
	v_add3_u32 v40, v70, v40, v43                              // 0000000069A0: D1FF0028 04AE5146
	v_cndmask_b32_e64 v16, v40, v42, s[70:71]                  // 0000000069A8: D1000010 011A5528
	v_lshrrev_b32_e32 v16, 16, v16                             // 0000000069B0: 20202090
	v_cmp_u_f32_e64 s[70:71], v71, v71                         // 0000000069B4: D0480046 00028F47
	v_bfe_u32 v40, v71, 16, 1                                  // 0000000069BC: D1C80028 02052147
	v_add3_u32 v40, v71, v40, v43                              // 0000000069C4: D1FF0028 04AE5147
	v_cndmask_b32_e64 v17, v40, v42, s[70:71]                  // 0000000069CC: D1000011 011A5528
	v_and_or_b32 v67, v17, v41, v16                            // 0000000069D4: D2010043 04425311
	v_cmp_u_f32_e64 s[70:71], v72, v72                         // 0000000069DC: D0480046 00029148
	v_bfe_u32 v40, v72, 16, 1                                  // 0000000069E4: D1C80028 02052148
	v_add3_u32 v40, v72, v40, v43                              // 0000000069EC: D1FF0028 04AE5148
	v_cndmask_b32_e64 v16, v40, v42, s[70:71]                  // 0000000069F4: D1000010 011A5528
	v_lshrrev_b32_e32 v16, 16, v16                             // 0000000069FC: 20202090
	v_cmp_u_f32_e64 s[70:71], v73, v73                         // 000000006A00: D0480046 00029349
	v_bfe_u32 v40, v73, 16, 1                                  // 000000006A08: D1C80028 02052149
	v_add3_u32 v40, v73, v40, v43                              // 000000006A10: D1FF0028 04AE5149
	v_cndmask_b32_e64 v17, v40, v42, s[70:71]                  // 000000006A18: D1000011 011A5528
	v_and_or_b32 v68, v17, v41, v16                            // 000000006A20: D2010044 04425311
	v_cmp_u_f32_e64 s[70:71], v74, v74                         // 000000006A28: D0480046 0002954A
	v_bfe_u32 v40, v74, 16, 1                                  // 000000006A30: D1C80028 0205214A
	v_add3_u32 v40, v74, v40, v43                              // 000000006A38: D1FF0028 04AE514A
	v_cndmask_b32_e64 v16, v40, v42, s[70:71]                  // 000000006A40: D1000010 011A5528
	v_lshrrev_b32_e32 v16, 16, v16                             // 000000006A48: 20202090
	v_cmp_u_f32_e64 s[70:71], v75, v75                         // 000000006A4C: D0480046 0002974B
	v_bfe_u32 v40, v75, 16, 1                                  // 000000006A54: D1C80028 0205214B
	v_add3_u32 v40, v75, v40, v43                              // 000000006A5C: D1FF0028 04AE514B
	v_cndmask_b32_e64 v17, v40, v42, s[70:71]                  // 000000006A64: D1000011 011A5528
	v_and_or_b32 v69, v17, v41, v16                            // 000000006A6C: D2010045 04425311
	v_cmp_u_f32_e64 s[70:71], v76, v76                         // 000000006A74: D0480046 0002994C
	v_bfe_u32 v40, v76, 16, 1                                  // 000000006A7C: D1C80028 0205214C
	v_add3_u32 v40, v76, v40, v43                              // 000000006A84: D1FF0028 04AE514C
	v_cndmask_b32_e64 v16, v40, v42, s[70:71]                  // 000000006A8C: D1000010 011A5528
	v_lshrrev_b32_e32 v16, 16, v16                             // 000000006A94: 20202090
	v_cmp_u_f32_e64 s[70:71], v77, v77                         // 000000006A98: D0480046 00029B4D
	v_bfe_u32 v40, v77, 16, 1                                  // 000000006AA0: D1C80028 0205214D
	v_add3_u32 v40, v77, v40, v43                              // 000000006AA8: D1FF0028 04AE514D
	v_cndmask_b32_e64 v17, v40, v42, s[70:71]                  // 000000006AB0: D1000011 011A5528
	v_and_or_b32 v70, v17, v41, v16                            // 000000006AB8: D2010046 04425311
	v_cmp_u_f32_e64 s[70:71], v78, v78                         // 000000006AC0: D0480046 00029D4E
	v_bfe_u32 v40, v78, 16, 1                                  // 000000006AC8: D1C80028 0205214E
	v_add3_u32 v40, v78, v40, v43                              // 000000006AD0: D1FF0028 04AE514E
	v_cndmask_b32_e64 v16, v40, v42, s[70:71]                  // 000000006AD8: D1000010 011A5528
	v_lshrrev_b32_e32 v16, 16, v16                             // 000000006AE0: 20202090
	v_cmp_u_f32_e64 s[70:71], v79, v79                         // 000000006AE4: D0480046 00029F4F
	v_bfe_u32 v40, v79, 16, 1                                  // 000000006AEC: D1C80028 0205214F
	v_add3_u32 v40, v79, v40, v43                              // 000000006AF4: D1FF0028 04AE514F
	v_cndmask_b32_e64 v17, v40, v42, s[70:71]                  // 000000006AFC: D1000011 011A5528
	v_and_or_b32 v71, v17, v41, v16                            // 000000006B04: D2010047 04425311
	s_waitcnt lgkmcnt(0)                                       // 000000006B0C: BF8CC07F
	v_mfma_f32_32x32x8_bf16 v[96:111], v[192:193], v[64:65], v[96:111]// 000000006B10: D3E00060 058281C0
	v_mfma_f32_32x32x8_bf16 v[96:111], v[194:195], v[66:67], v[96:111]// 000000006B18: D3E00060 058285C2
	v_mfma_f32_32x32x8_bf16 v[96:111], v[196:197], v[68:69], v[96:111]// 000000006B20: D3E00060 058289C4
	v_mfma_f32_32x32x8_bf16 v[96:111], v[198:199], v[70:71], v[96:111]// 000000006B28: D3E00060 05828DC6
	v_mfma_f32_32x32x8_bf16 v[112:127], v[200:201], v[64:65], v[112:127]// 000000006B30: D3E00070 05C281C8
	v_mfma_f32_32x32x8_bf16 v[112:127], v[202:203], v[66:67], v[112:127]// 000000006B38: D3E00070 05C285CA
	v_mfma_f32_32x32x8_bf16 v[112:127], v[204:205], v[68:69], v[112:127]// 000000006B40: D3E00070 05C289CC
	v_mfma_f32_32x32x8_bf16 v[112:127], v[206:207], v[70:71], v[112:127]// 000000006B48: D3E00070 05C28DCE
	v_mfma_f32_32x32x8_bf16 v[128:143], v[208:209], v[64:65], v[128:143]// 000000006B50: D3E00080 060281D0
	v_mfma_f32_32x32x8_bf16 v[128:143], v[210:211], v[66:67], v[128:143]// 000000006B58: D3E00080 060285D2
	v_mfma_f32_32x32x8_bf16 v[128:143], v[212:213], v[68:69], v[128:143]// 000000006B60: D3E00080 060289D4
	v_mfma_f32_32x32x8_bf16 v[128:143], v[214:215], v[70:71], v[128:143]// 000000006B68: D3E00080 06028DD6
	v_mfma_f32_32x32x8_bf16 v[144:159], v[216:217], v[64:65], v[144:159]// 000000006B70: D3E00090 064281D8
	v_mfma_f32_32x32x8_bf16 v[144:159], v[218:219], v[66:67], v[144:159]// 000000006B78: D3E00090 064285DA
	v_mfma_f32_32x32x8_bf16 v[144:159], v[220:221], v[68:69], v[144:159]// 000000006B80: D3E00090 064289DC
	v_mfma_f32_32x32x8_bf16 v[144:159], v[222:223], v[70:71], v[144:159]// 000000006B88: D3E00090 06428DDE

0000000000006b90 <label_0E24>:
	v_cvt_f32_u32_e32 v16, s62                                 // 000000006B90: 7E200C3E
	s_sub_i32 s40, 0, s62                                      // 000000006B94: 81A83E80
	v_rcp_iflag_f32_e32 v16, v16                               // 000000006B98: 7E204710
	s_nop 0                                                    // 000000006B9C: BF800000
	v_mul_f32_e32 v16, 0x4f7ffffe, v16                         // 000000006BA0: 0A2020FF 4F7FFFFE
	v_cvt_u32_f32_e32 v16, v16                                 // 000000006BA8: 7E200F10
	v_mul_lo_u32 v17, s40, v16                                 // 000000006BAC: D2850011 00022028
	v_mul_hi_u32 v17, v16, v17                                 // 000000006BB4: D2860011 00022310
	v_add_u32_e32 v16, v16, v17                                // 000000006BBC: 68202310
	v_mul_hi_u32 v16, s63, v16                                 // 000000006BC0: D2860010 0002203F
	v_mul_lo_u32 v17, v16, s62                                 // 000000006BC8: D2850011 00007D10
	v_sub_u32_e32 v19, s63, v17                                // 000000006BD0: 6A26223F
	v_add_u32_e32 v18, 1, v16                                  // 000000006BD4: 68242081
	v_cmp_le_u32_e32 vcc, s62, v19                             // 000000006BD8: 7D96263E
	v_subrev_u32_e32 v17, s62, v19                             // 000000006BDC: 6C22263E
	s_nop 0                                                    // 000000006BE0: BF800000
	v_cndmask_b32_e32 v16, v16, v18, vcc                       // 000000006BE4: 00202510
	v_cndmask_b32_e32 v19, v19, v17, vcc                       // 000000006BE8: 00262313
	v_add_u32_e32 v17, 1, v16                                  // 000000006BEC: 68222081
	v_cmp_le_u32_e32 vcc, s62, v19                             // 000000006BF0: 7D96263E
	s_nop 1                                                    // 000000006BF4: BF800001
	v_cndmask_b32_e32 v19, v16, v17, vcc                       // 000000006BF8: 00262310
	s_nop 3                                                    // 000000006BFC: BF800003
	v_readfirstlane_b32 s63, v19                               // 000000006C00: 7E7E0513
	s_nop 3                                                    // 000000006C04: BF800003
	s_mul_i32 s63, s63, s83                                    // 000000006C08: 923F533F
	v_lshrrev_b32_e32 v16, 3, v0                               // 000000006C0C: 20200083
	v_mul_i32_i24_e32 v8, s83, v16                             // 000000006C10: 0C102053
	v_and_b32_e32 v16, 7, v0                                   // 000000006C14: 26200087
	v_mul_i32_i24_e32 v16, 16, v16                             // 000000006C18: 0C202090
	v_add_u32_e32 v8, v16, v8                                  // 000000006C1C: 68101110
	s_mul_i32 s40, s5, s83                                     // 000000006C20: 92285305
	s_mul_i32 s40, s40, 32                                     // 000000006C24: 9228A028
	s_add_u32 s40, s63, s40                                    // 000000006C28: 8028283F
	v_add_u32_e32 v8, s40, v8                                  // 000000006C2C: 68101028
	s_mul_i32 s40, s83, 8                                      // 000000006C30: 92288853
	v_add_u32_e32 v9, s40, v8                                  // 000000006C34: 68121028
	v_add_u32_e32 v10, s40, v9                                 // 000000006C38: 68141228
	v_add_u32_e32 v11, s40, v10                                // 000000006C3C: 68161428
	s_mul_i32 s40, s4, 0x100                                   // 000000006C40: 9228FF04 00000100
	v_and_b32_e32 v3, 31, v0                                   // 000000006C48: 2606009F
	v_add_u32_e32 v3, s40, v3                                  // 000000006C4C: 68060628
	s_mul_i32 s40, s5, 32                                      // 000000006C50: 9228A005
	v_add_u32_e32 v3, s40, v3                                  // 000000006C54: 68060628
	v_lshlrev_b32_e32 v3, 2, v3                                // 000000006C58: 24060682
	ds_permute_b32 v16, v32, v22                               // 000000006C5C: D87C0000 10001620
	s_waitcnt lgkmcnt(0)                                       // 000000006C64: BF8CC07F
	v_add_f32_e32 v22, v16, v22                                // 000000006C68: 022C2D10
	v_mul_f32_e64 v16, v28, s28                                // 000000006C6C: D1050010 0000391C
	v_log_f32_e32 v17, v22                                     // 000000006C74: 7E224316
	v_cmp_eq_f32_e64 s[40:41], v22, 0                          // 000000006C78: D0420028 00010116
	s_nop 1                                                    // 000000006C80: BF800001
	v_rcp_f32_e32 v22, v22                                     // 000000006C84: 7E2C4516
	s_nop 1                                                    // 000000006C88: BF800001
	v_cndmask_b32_e64 v22, v22, 0, s[40:41]                    // 000000006C8C: D1000016 00A10116
	v_fma_f32 v2, v17, s45, v16                                // 000000006C94: D1CB0002 04405B11
	v_mov_b32_e32 v23, v22                                     // 000000006C9C: 7E2E0316
	v_lshrrev_b32_e32 v16, 5, v0                               // 000000006CA0: 20200085
	v_mul_i32_i24_e32 v35, 0x42, v16                           // 000000006CA4: 0C4620FF 00000042
	v_and_b32_e32 v16, 31, v0                                  // 000000006CAC: 2620009F
	v_mul_i32_i24_e32 v16, 2, v16                              // 000000006CB0: 0C202082
	v_add_u32_e32 v35, v16, v35                                // 000000006CB4: 68464710
	s_mul_i32 s40, s5, 0x420                                   // 000000006CB8: 9228FF05 00000420
	v_add_u32_e32 v35, s40, v35                                // 000000006CC0: 68464628
	v_lshlrev_b32_e32 v35, 2, v35                              // 000000006CC4: 24464682
	v_lshrrev_b32_e32 v16, 3, v0                               // 000000006CC8: 20200083
	v_mul_i32_i24_e32 v34, 2, v16                              // 000000006CCC: 0C442082
	v_and_b32_e32 v16, 7, v0                                   // 000000006CD0: 26200087
	v_mul_i32_i24_e32 v16, 0x84, v16                           // 000000006CD4: 0C2020FF 00000084
	v_add_u32_e32 v34, v16, v34                                // 000000006CDC: 68444510
	s_mul_i32 s40, s5, 0x420                                   // 000000006CE0: 9228FF05 00000420
	v_add_u32_e32 v34, s40, v34                                // 000000006CE8: 68444428
	v_lshlrev_b32_e32 v34, 2, v34                              // 000000006CEC: 24444482
	s_waitcnt vmcnt(0) expcnt(0) lgkmcnt(0)                    // 000000006CF0: BF8C0000
	s_barrier                                                  // 000000006CF4: BF8A0000
	v_pk_mul_f32 v[96:97], v[22:23], v[96:97]                  // 000000006CF8: D3B14060 1802C116
	v_pk_mul_f32 v[98:99], v[22:23], v[98:99]                  // 000000006D00: D3B14062 1802C516
	v_pk_mul_f32 v[100:101], v[22:23], v[100:101]              // 000000006D08: D3B14064 1802C916
	v_pk_mul_f32 v[102:103], v[22:23], v[102:103]              // 000000006D10: D3B14066 1802CD16
	v_pk_mul_f32 v[104:105], v[22:23], v[104:105]              // 000000006D18: D3B14068 1802D116
	v_pk_mul_f32 v[106:107], v[22:23], v[106:107]              // 000000006D20: D3B1406A 1802D516
	v_pk_mul_f32 v[108:109], v[22:23], v[108:109]              // 000000006D28: D3B1406C 1802D916
	v_pk_mul_f32 v[110:111], v[22:23], v[110:111]              // 000000006D30: D3B1406E 1802DD16
	v_pk_mul_f32 v[112:113], v[22:23], v[112:113]              // 000000006D38: D3B14070 1802E116
	v_pk_mul_f32 v[114:115], v[22:23], v[114:115]              // 000000006D40: D3B14072 1802E516
	v_pk_mul_f32 v[116:117], v[22:23], v[116:117]              // 000000006D48: D3B14074 1802E916
	v_pk_mul_f32 v[118:119], v[22:23], v[118:119]              // 000000006D50: D3B14076 1802ED16
	v_pk_mul_f32 v[120:121], v[22:23], v[120:121]              // 000000006D58: D3B14078 1802F116
	v_pk_mul_f32 v[122:123], v[22:23], v[122:123]              // 000000006D60: D3B1407A 1802F516
	v_pk_mul_f32 v[124:125], v[22:23], v[124:125]              // 000000006D68: D3B1407C 1802F916
	v_pk_mul_f32 v[126:127], v[22:23], v[126:127]              // 000000006D70: D3B1407E 1802FD16
	v_cmp_u_f32_e64 s[70:71], v96, v96                         // 000000006D78: D0480046 0002C160
	v_bfe_u32 v40, v96, 16, 1                                  // 000000006D80: D1C80028 02052160
	v_add3_u32 v40, v96, v40, v43                              // 000000006D88: D1FF0028 04AE5160
	v_cndmask_b32_e64 v16, v40, v42, s[70:71]                  // 000000006D90: D1000010 011A5528
	v_lshrrev_b32_e32 v16, 16, v16                             // 000000006D98: 20202090
	v_cmp_u_f32_e64 s[70:71], v97, v97                         // 000000006D9C: D0480046 0002C361
	v_bfe_u32 v40, v97, 16, 1                                  // 000000006DA4: D1C80028 02052161
	v_add3_u32 v40, v97, v40, v43                              // 000000006DAC: D1FF0028 04AE5161
	v_cndmask_b32_e64 v17, v40, v42, s[70:71]                  // 000000006DB4: D1000011 011A5528
	v_and_or_b32 v96, v17, v41, v16                            // 000000006DBC: D2010060 04425311
	v_cmp_u_f32_e64 s[70:71], v98, v98                         // 000000006DC4: D0480046 0002C562
	v_bfe_u32 v40, v98, 16, 1                                  // 000000006DCC: D1C80028 02052162
	v_add3_u32 v40, v98, v40, v43                              // 000000006DD4: D1FF0028 04AE5162
	v_cndmask_b32_e64 v16, v40, v42, s[70:71]                  // 000000006DDC: D1000010 011A5528
	v_lshrrev_b32_e32 v16, 16, v16                             // 000000006DE4: 20202090
	v_cmp_u_f32_e64 s[70:71], v99, v99                         // 000000006DE8: D0480046 0002C763
	v_bfe_u32 v40, v99, 16, 1                                  // 000000006DF0: D1C80028 02052163
	v_add3_u32 v40, v99, v40, v43                              // 000000006DF8: D1FF0028 04AE5163
	v_cndmask_b32_e64 v17, v40, v42, s[70:71]                  // 000000006E00: D1000011 011A5528
	v_and_or_b32 v97, v17, v41, v16                            // 000000006E08: D2010061 04425311
	v_cmp_u_f32_e64 s[70:71], v100, v100                       // 000000006E10: D0480046 0002C964
	v_bfe_u32 v40, v100, 16, 1                                 // 000000006E18: D1C80028 02052164
	v_add3_u32 v40, v100, v40, v43                             // 000000006E20: D1FF0028 04AE5164
	v_cndmask_b32_e64 v16, v40, v42, s[70:71]                  // 000000006E28: D1000010 011A5528
	v_lshrrev_b32_e32 v16, 16, v16                             // 000000006E30: 20202090
	v_cmp_u_f32_e64 s[70:71], v101, v101                       // 000000006E34: D0480046 0002CB65
	v_bfe_u32 v40, v101, 16, 1                                 // 000000006E3C: D1C80028 02052165
	v_add3_u32 v40, v101, v40, v43                             // 000000006E44: D1FF0028 04AE5165
	v_cndmask_b32_e64 v17, v40, v42, s[70:71]                  // 000000006E4C: D1000011 011A5528
	v_and_or_b32 v98, v17, v41, v16                            // 000000006E54: D2010062 04425311
	v_cmp_u_f32_e64 s[70:71], v102, v102                       // 000000006E5C: D0480046 0002CD66
	v_bfe_u32 v40, v102, 16, 1                                 // 000000006E64: D1C80028 02052166
	v_add3_u32 v40, v102, v40, v43                             // 000000006E6C: D1FF0028 04AE5166
	v_cndmask_b32_e64 v16, v40, v42, s[70:71]                  // 000000006E74: D1000010 011A5528
	v_lshrrev_b32_e32 v16, 16, v16                             // 000000006E7C: 20202090
	v_cmp_u_f32_e64 s[70:71], v103, v103                       // 000000006E80: D0480046 0002CF67
	v_bfe_u32 v40, v103, 16, 1                                 // 000000006E88: D1C80028 02052167
	v_add3_u32 v40, v103, v40, v43                             // 000000006E90: D1FF0028 04AE5167
	v_cndmask_b32_e64 v17, v40, v42, s[70:71]                  // 000000006E98: D1000011 011A5528
	v_and_or_b32 v99, v17, v41, v16                            // 000000006EA0: D2010063 04425311
	v_cmp_u_f32_e64 s[70:71], v104, v104                       // 000000006EA8: D0480046 0002D168
	v_bfe_u32 v40, v104, 16, 1                                 // 000000006EB0: D1C80028 02052168
	v_add3_u32 v40, v104, v40, v43                             // 000000006EB8: D1FF0028 04AE5168
	v_cndmask_b32_e64 v16, v40, v42, s[70:71]                  // 000000006EC0: D1000010 011A5528
	v_lshrrev_b32_e32 v16, 16, v16                             // 000000006EC8: 20202090
	v_cmp_u_f32_e64 s[70:71], v105, v105                       // 000000006ECC: D0480046 0002D369
	v_bfe_u32 v40, v105, 16, 1                                 // 000000006ED4: D1C80028 02052169
	v_add3_u32 v40, v105, v40, v43                             // 000000006EDC: D1FF0028 04AE5169
	v_cndmask_b32_e64 v17, v40, v42, s[70:71]                  // 000000006EE4: D1000011 011A5528
	v_and_or_b32 v100, v17, v41, v16                           // 000000006EEC: D2010064 04425311
	v_cmp_u_f32_e64 s[70:71], v106, v106                       // 000000006EF4: D0480046 0002D56A
	v_bfe_u32 v40, v106, 16, 1                                 // 000000006EFC: D1C80028 0205216A
	v_add3_u32 v40, v106, v40, v43                             // 000000006F04: D1FF0028 04AE516A
	v_cndmask_b32_e64 v16, v40, v42, s[70:71]                  // 000000006F0C: D1000010 011A5528
	v_lshrrev_b32_e32 v16, 16, v16                             // 000000006F14: 20202090
	v_cmp_u_f32_e64 s[70:71], v107, v107                       // 000000006F18: D0480046 0002D76B
	v_bfe_u32 v40, v107, 16, 1                                 // 000000006F20: D1C80028 0205216B
	v_add3_u32 v40, v107, v40, v43                             // 000000006F28: D1FF0028 04AE516B
	v_cndmask_b32_e64 v17, v40, v42, s[70:71]                  // 000000006F30: D1000011 011A5528
	v_and_or_b32 v101, v17, v41, v16                           // 000000006F38: D2010065 04425311
	v_cmp_u_f32_e64 s[70:71], v108, v108                       // 000000006F40: D0480046 0002D96C
	v_bfe_u32 v40, v108, 16, 1                                 // 000000006F48: D1C80028 0205216C
	v_add3_u32 v40, v108, v40, v43                             // 000000006F50: D1FF0028 04AE516C
	v_cndmask_b32_e64 v16, v40, v42, s[70:71]                  // 000000006F58: D1000010 011A5528
	v_lshrrev_b32_e32 v16, 16, v16                             // 000000006F60: 20202090
	v_cmp_u_f32_e64 s[70:71], v109, v109                       // 000000006F64: D0480046 0002DB6D
	v_bfe_u32 v40, v109, 16, 1                                 // 000000006F6C: D1C80028 0205216D
	v_add3_u32 v40, v109, v40, v43                             // 000000006F74: D1FF0028 04AE516D
	v_cndmask_b32_e64 v17, v40, v42, s[70:71]                  // 000000006F7C: D1000011 011A5528
	v_and_or_b32 v102, v17, v41, v16                           // 000000006F84: D2010066 04425311
	v_cmp_u_f32_e64 s[70:71], v110, v110                       // 000000006F8C: D0480046 0002DD6E
	v_bfe_u32 v40, v110, 16, 1                                 // 000000006F94: D1C80028 0205216E
	v_add3_u32 v40, v110, v40, v43                             // 000000006F9C: D1FF0028 04AE516E
	v_cndmask_b32_e64 v16, v40, v42, s[70:71]                  // 000000006FA4: D1000010 011A5528
	v_lshrrev_b32_e32 v16, 16, v16                             // 000000006FAC: 20202090
	v_cmp_u_f32_e64 s[70:71], v111, v111                       // 000000006FB0: D0480046 0002DF6F
	v_bfe_u32 v40, v111, 16, 1                                 // 000000006FB8: D1C80028 0205216F
	v_add3_u32 v40, v111, v40, v43                             // 000000006FC0: D1FF0028 04AE516F
	v_cndmask_b32_e64 v17, v40, v42, s[70:71]                  // 000000006FC8: D1000011 011A5528
	v_and_or_b32 v103, v17, v41, v16                           // 000000006FD0: D2010067 04425311
	v_cmp_u_f32_e64 s[70:71], v112, v112                       // 000000006FD8: D0480046 0002E170
	v_bfe_u32 v40, v112, 16, 1                                 // 000000006FE0: D1C80028 02052170
	v_add3_u32 v40, v112, v40, v43                             // 000000006FE8: D1FF0028 04AE5170
	v_cndmask_b32_e64 v16, v40, v42, s[70:71]                  // 000000006FF0: D1000010 011A5528
	v_lshrrev_b32_e32 v16, 16, v16                             // 000000006FF8: 20202090
	v_cmp_u_f32_e64 s[70:71], v113, v113                       // 000000006FFC: D0480046 0002E371
	v_bfe_u32 v40, v113, 16, 1                                 // 000000007004: D1C80028 02052171
	v_add3_u32 v40, v113, v40, v43                             // 00000000700C: D1FF0028 04AE5171
	v_cndmask_b32_e64 v17, v40, v42, s[70:71]                  // 000000007014: D1000011 011A5528
	v_and_or_b32 v104, v17, v41, v16                           // 00000000701C: D2010068 04425311
	v_cmp_u_f32_e64 s[70:71], v114, v114                       // 000000007024: D0480046 0002E572
	v_bfe_u32 v40, v114, 16, 1                                 // 00000000702C: D1C80028 02052172
	v_add3_u32 v40, v114, v40, v43                             // 000000007034: D1FF0028 04AE5172
	v_cndmask_b32_e64 v16, v40, v42, s[70:71]                  // 00000000703C: D1000010 011A5528
	v_lshrrev_b32_e32 v16, 16, v16                             // 000000007044: 20202090
	v_cmp_u_f32_e64 s[70:71], v115, v115                       // 000000007048: D0480046 0002E773
	v_bfe_u32 v40, v115, 16, 1                                 // 000000007050: D1C80028 02052173
	v_add3_u32 v40, v115, v40, v43                             // 000000007058: D1FF0028 04AE5173
	v_cndmask_b32_e64 v17, v40, v42, s[70:71]                  // 000000007060: D1000011 011A5528
	v_and_or_b32 v105, v17, v41, v16                           // 000000007068: D2010069 04425311
	v_cmp_u_f32_e64 s[70:71], v116, v116                       // 000000007070: D0480046 0002E974
	v_bfe_u32 v40, v116, 16, 1                                 // 000000007078: D1C80028 02052174
	v_add3_u32 v40, v116, v40, v43                             // 000000007080: D1FF0028 04AE5174
	v_cndmask_b32_e64 v16, v40, v42, s[70:71]                  // 000000007088: D1000010 011A5528
	v_lshrrev_b32_e32 v16, 16, v16                             // 000000007090: 20202090
	v_cmp_u_f32_e64 s[70:71], v117, v117                       // 000000007094: D0480046 0002EB75
	v_bfe_u32 v40, v117, 16, 1                                 // 00000000709C: D1C80028 02052175
	v_add3_u32 v40, v117, v40, v43                             // 0000000070A4: D1FF0028 04AE5175
	v_cndmask_b32_e64 v17, v40, v42, s[70:71]                  // 0000000070AC: D1000011 011A5528
	v_and_or_b32 v106, v17, v41, v16                           // 0000000070B4: D201006A 04425311
	v_cmp_u_f32_e64 s[70:71], v118, v118                       // 0000000070BC: D0480046 0002ED76
	v_bfe_u32 v40, v118, 16, 1                                 // 0000000070C4: D1C80028 02052176
	v_add3_u32 v40, v118, v40, v43                             // 0000000070CC: D1FF0028 04AE5176
	v_cndmask_b32_e64 v16, v40, v42, s[70:71]                  // 0000000070D4: D1000010 011A5528
	v_lshrrev_b32_e32 v16, 16, v16                             // 0000000070DC: 20202090
	v_cmp_u_f32_e64 s[70:71], v119, v119                       // 0000000070E0: D0480046 0002EF77
	v_bfe_u32 v40, v119, 16, 1                                 // 0000000070E8: D1C80028 02052177
	v_add3_u32 v40, v119, v40, v43                             // 0000000070F0: D1FF0028 04AE5177
	v_cndmask_b32_e64 v17, v40, v42, s[70:71]                  // 0000000070F8: D1000011 011A5528
	v_and_or_b32 v107, v17, v41, v16                           // 000000007100: D201006B 04425311
	v_cmp_u_f32_e64 s[70:71], v120, v120                       // 000000007108: D0480046 0002F178
	v_bfe_u32 v40, v120, 16, 1                                 // 000000007110: D1C80028 02052178
	v_add3_u32 v40, v120, v40, v43                             // 000000007118: D1FF0028 04AE5178
	v_cndmask_b32_e64 v16, v40, v42, s[70:71]                  // 000000007120: D1000010 011A5528
	v_lshrrev_b32_e32 v16, 16, v16                             // 000000007128: 20202090
	v_cmp_u_f32_e64 s[70:71], v121, v121                       // 00000000712C: D0480046 0002F379
	v_bfe_u32 v40, v121, 16, 1                                 // 000000007134: D1C80028 02052179
	v_add3_u32 v40, v121, v40, v43                             // 00000000713C: D1FF0028 04AE5179
	v_cndmask_b32_e64 v17, v40, v42, s[70:71]                  // 000000007144: D1000011 011A5528
	v_and_or_b32 v108, v17, v41, v16                           // 00000000714C: D201006C 04425311
	v_cmp_u_f32_e64 s[70:71], v122, v122                       // 000000007154: D0480046 0002F57A
	v_bfe_u32 v40, v122, 16, 1                                 // 00000000715C: D1C80028 0205217A
	v_add3_u32 v40, v122, v40, v43                             // 000000007164: D1FF0028 04AE517A
	v_cndmask_b32_e64 v16, v40, v42, s[70:71]                  // 00000000716C: D1000010 011A5528
	v_lshrrev_b32_e32 v16, 16, v16                             // 000000007174: 20202090
	v_cmp_u_f32_e64 s[70:71], v123, v123                       // 000000007178: D0480046 0002F77B
	v_bfe_u32 v40, v123, 16, 1                                 // 000000007180: D1C80028 0205217B
	v_add3_u32 v40, v123, v40, v43                             // 000000007188: D1FF0028 04AE517B
	v_cndmask_b32_e64 v17, v40, v42, s[70:71]                  // 000000007190: D1000011 011A5528
	v_and_or_b32 v109, v17, v41, v16                           // 000000007198: D201006D 04425311
	v_cmp_u_f32_e64 s[70:71], v124, v124                       // 0000000071A0: D0480046 0002F97C
	v_bfe_u32 v40, v124, 16, 1                                 // 0000000071A8: D1C80028 0205217C
	v_add3_u32 v40, v124, v40, v43                             // 0000000071B0: D1FF0028 04AE517C
	v_cndmask_b32_e64 v16, v40, v42, s[70:71]                  // 0000000071B8: D1000010 011A5528
	v_lshrrev_b32_e32 v16, 16, v16                             // 0000000071C0: 20202090
	v_cmp_u_f32_e64 s[70:71], v125, v125                       // 0000000071C4: D0480046 0002FB7D
	v_bfe_u32 v40, v125, 16, 1                                 // 0000000071CC: D1C80028 0205217D
	v_add3_u32 v40, v125, v40, v43                             // 0000000071D4: D1FF0028 04AE517D
	v_cndmask_b32_e64 v17, v40, v42, s[70:71]                  // 0000000071DC: D1000011 011A5528
	v_and_or_b32 v110, v17, v41, v16                           // 0000000071E4: D201006E 04425311
	v_cmp_u_f32_e64 s[70:71], v126, v126                       // 0000000071EC: D0480046 0002FD7E
	v_bfe_u32 v40, v126, 16, 1                                 // 0000000071F4: D1C80028 0205217E
	v_add3_u32 v40, v126, v40, v43                             // 0000000071FC: D1FF0028 04AE517E
	v_cndmask_b32_e64 v16, v40, v42, s[70:71]                  // 000000007204: D1000010 011A5528
	v_lshrrev_b32_e32 v16, 16, v16                             // 00000000720C: 20202090
	v_cmp_u_f32_e64 s[70:71], v127, v127                       // 000000007210: D0480046 0002FF7F
	v_bfe_u32 v40, v127, 16, 1                                 // 000000007218: D1C80028 0205217F
	v_add3_u32 v40, v127, v40, v43                             // 000000007220: D1FF0028 04AE517F
	v_cndmask_b32_e64 v17, v40, v42, s[70:71]                  // 000000007228: D1000011 011A5528
	v_and_or_b32 v111, v17, v41, v16                           // 000000007230: D201006F 04425311
	ds_write_b64 v35, v[96:97]                                 // 000000007238: D89A0000 00006023
	ds_write_b64 v35, v[98:99] offset:528                      // 000000007240: D89A0210 00006223
	ds_write_b64 v35, v[100:101] offset:1056                   // 000000007248: D89A0420 00006423
	ds_write_b64 v35, v[102:103] offset:1584                   // 000000007250: D89A0630 00006623
	ds_write_b64 v35, v[104:105] offset:2112                   // 000000007258: D89A0840 00006823
	ds_write_b64 v35, v[106:107] offset:2640                   // 000000007260: D89A0A50 00006A23
	ds_write_b64 v35, v[108:109] offset:3168                   // 000000007268: D89A0C60 00006C23
	ds_write_b64 v35, v[110:111] offset:3696                   // 000000007270: D89A0E70 00006E23
	s_waitcnt vmcnt(0) expcnt(0) lgkmcnt(0)                    // 000000007278: BF8C0000
	ds_read_b64 v[96:97], v34                                  // 00000000727C: D8EC0000 60000022
	ds_read_b64 v[98:99], v34 offset:264                       // 000000007284: D8EC0108 62000022
	ds_read_b64 v[100:101], v34 offset:64                      // 00000000728C: D8EC0040 64000022
	ds_read_b64 v[102:103], v34 offset:328                     // 000000007294: D8EC0148 66000022
	ds_read_b64 v[104:105], v34 offset:128                     // 00000000729C: D8EC0080 68000022
	ds_read_b64 v[106:107], v34 offset:392                     // 0000000072A4: D8EC0188 6A000022
	ds_read_b64 v[108:109], v34 offset:192                     // 0000000072AC: D8EC00C0 6C000022
	ds_read_b64 v[110:111], v34 offset:456                     // 0000000072B4: D8EC01C8 6E000022
	s_waitcnt vmcnt(0) expcnt(0) lgkmcnt(0)                    // 0000000072BC: BF8C0000
	buffer_store_dwordx4 v[96:99], v8, s[20:23], 0 offen       // 0000000072C0: E07C1000 80056008
	buffer_store_dwordx4 v[100:103], v9, s[20:23], 0 offen     // 0000000072C8: E07C1000 80056409
	buffer_store_dwordx4 v[104:107], v10, s[20:23], 0 offen    // 0000000072D0: E07C1000 8005680A
	buffer_store_dwordx4 v[108:111], v11, s[20:23], 0 offen    // 0000000072D8: E07C1000 80056C0B
	v_pk_mul_f32 v[128:129], v[22:23], v[128:129]              // 0000000072E0: D3B14080 18030116
	v_pk_mul_f32 v[130:131], v[22:23], v[130:131]              // 0000000072E8: D3B14082 18030516
	v_pk_mul_f32 v[132:133], v[22:23], v[132:133]              // 0000000072F0: D3B14084 18030916
	v_pk_mul_f32 v[134:135], v[22:23], v[134:135]              // 0000000072F8: D3B14086 18030D16
	v_pk_mul_f32 v[136:137], v[22:23], v[136:137]              // 000000007300: D3B14088 18031116
	v_pk_mul_f32 v[138:139], v[22:23], v[138:139]              // 000000007308: D3B1408A 18031516
	v_pk_mul_f32 v[140:141], v[22:23], v[140:141]              // 000000007310: D3B1408C 18031916
	v_pk_mul_f32 v[142:143], v[22:23], v[142:143]              // 000000007318: D3B1408E 18031D16
	v_pk_mul_f32 v[144:145], v[22:23], v[144:145]              // 000000007320: D3B14090 18032116
	v_pk_mul_f32 v[146:147], v[22:23], v[146:147]              // 000000007328: D3B14092 18032516
	v_pk_mul_f32 v[148:149], v[22:23], v[148:149]              // 000000007330: D3B14094 18032916
	v_pk_mul_f32 v[150:151], v[22:23], v[150:151]              // 000000007338: D3B14096 18032D16
	v_pk_mul_f32 v[152:153], v[22:23], v[152:153]              // 000000007340: D3B14098 18033116
	v_pk_mul_f32 v[154:155], v[22:23], v[154:155]              // 000000007348: D3B1409A 18033516
	v_pk_mul_f32 v[156:157], v[22:23], v[156:157]              // 000000007350: D3B1409C 18033916
	v_pk_mul_f32 v[158:159], v[22:23], v[158:159]              // 000000007358: D3B1409E 18033D16
	v_cmp_u_f32_e64 s[70:71], v128, v128                       // 000000007360: D0480046 00030180
	v_bfe_u32 v40, v128, 16, 1                                 // 000000007368: D1C80028 02052180
	v_add3_u32 v40, v128, v40, v43                             // 000000007370: D1FF0028 04AE5180
	v_cndmask_b32_e64 v16, v40, v42, s[70:71]                  // 000000007378: D1000010 011A5528
	v_lshrrev_b32_e32 v16, 16, v16                             // 000000007380: 20202090
	v_cmp_u_f32_e64 s[70:71], v129, v129                       // 000000007384: D0480046 00030381
	v_bfe_u32 v40, v129, 16, 1                                 // 00000000738C: D1C80028 02052181
	v_add3_u32 v40, v129, v40, v43                             // 000000007394: D1FF0028 04AE5181
	v_cndmask_b32_e64 v17, v40, v42, s[70:71]                  // 00000000739C: D1000011 011A5528
	v_and_or_b32 v128, v17, v41, v16                           // 0000000073A4: D2010080 04425311
	v_cmp_u_f32_e64 s[70:71], v130, v130                       // 0000000073AC: D0480046 00030582
	v_bfe_u32 v40, v130, 16, 1                                 // 0000000073B4: D1C80028 02052182
	v_add3_u32 v40, v130, v40, v43                             // 0000000073BC: D1FF0028 04AE5182
	v_cndmask_b32_e64 v16, v40, v42, s[70:71]                  // 0000000073C4: D1000010 011A5528
	v_lshrrev_b32_e32 v16, 16, v16                             // 0000000073CC: 20202090
	v_cmp_u_f32_e64 s[70:71], v131, v131                       // 0000000073D0: D0480046 00030783
	v_bfe_u32 v40, v131, 16, 1                                 // 0000000073D8: D1C80028 02052183
	v_add3_u32 v40, v131, v40, v43                             // 0000000073E0: D1FF0028 04AE5183
	v_cndmask_b32_e64 v17, v40, v42, s[70:71]                  // 0000000073E8: D1000011 011A5528
	v_and_or_b32 v129, v17, v41, v16                           // 0000000073F0: D2010081 04425311
	v_cmp_u_f32_e64 s[70:71], v132, v132                       // 0000000073F8: D0480046 00030984
	v_bfe_u32 v40, v132, 16, 1                                 // 000000007400: D1C80028 02052184
	v_add3_u32 v40, v132, v40, v43                             // 000000007408: D1FF0028 04AE5184
	v_cndmask_b32_e64 v16, v40, v42, s[70:71]                  // 000000007410: D1000010 011A5528
	v_lshrrev_b32_e32 v16, 16, v16                             // 000000007418: 20202090
	v_cmp_u_f32_e64 s[70:71], v133, v133                       // 00000000741C: D0480046 00030B85
	v_bfe_u32 v40, v133, 16, 1                                 // 000000007424: D1C80028 02052185
	v_add3_u32 v40, v133, v40, v43                             // 00000000742C: D1FF0028 04AE5185
	v_cndmask_b32_e64 v17, v40, v42, s[70:71]                  // 000000007434: D1000011 011A5528
	v_and_or_b32 v130, v17, v41, v16                           // 00000000743C: D2010082 04425311
	v_cmp_u_f32_e64 s[70:71], v134, v134                       // 000000007444: D0480046 00030D86
	v_bfe_u32 v40, v134, 16, 1                                 // 00000000744C: D1C80028 02052186
	v_add3_u32 v40, v134, v40, v43                             // 000000007454: D1FF0028 04AE5186
	v_cndmask_b32_e64 v16, v40, v42, s[70:71]                  // 00000000745C: D1000010 011A5528
	v_lshrrev_b32_e32 v16, 16, v16                             // 000000007464: 20202090
	v_cmp_u_f32_e64 s[70:71], v135, v135                       // 000000007468: D0480046 00030F87
	v_bfe_u32 v40, v135, 16, 1                                 // 000000007470: D1C80028 02052187
	v_add3_u32 v40, v135, v40, v43                             // 000000007478: D1FF0028 04AE5187
	v_cndmask_b32_e64 v17, v40, v42, s[70:71]                  // 000000007480: D1000011 011A5528
	v_and_or_b32 v131, v17, v41, v16                           // 000000007488: D2010083 04425311
	v_cmp_u_f32_e64 s[70:71], v136, v136                       // 000000007490: D0480046 00031188
	v_bfe_u32 v40, v136, 16, 1                                 // 000000007498: D1C80028 02052188
	v_add3_u32 v40, v136, v40, v43                             // 0000000074A0: D1FF0028 04AE5188
	v_cndmask_b32_e64 v16, v40, v42, s[70:71]                  // 0000000074A8: D1000010 011A5528
	v_lshrrev_b32_e32 v16, 16, v16                             // 0000000074B0: 20202090
	v_cmp_u_f32_e64 s[70:71], v137, v137                       // 0000000074B4: D0480046 00031389
	v_bfe_u32 v40, v137, 16, 1                                 // 0000000074BC: D1C80028 02052189
	v_add3_u32 v40, v137, v40, v43                             // 0000000074C4: D1FF0028 04AE5189
	v_cndmask_b32_e64 v17, v40, v42, s[70:71]                  // 0000000074CC: D1000011 011A5528
	v_and_or_b32 v132, v17, v41, v16                           // 0000000074D4: D2010084 04425311
	v_cmp_u_f32_e64 s[70:71], v138, v138                       // 0000000074DC: D0480046 0003158A
	v_bfe_u32 v40, v138, 16, 1                                 // 0000000074E4: D1C80028 0205218A
	v_add3_u32 v40, v138, v40, v43                             // 0000000074EC: D1FF0028 04AE518A
	v_cndmask_b32_e64 v16, v40, v42, s[70:71]                  // 0000000074F4: D1000010 011A5528
	v_lshrrev_b32_e32 v16, 16, v16                             // 0000000074FC: 20202090
	v_cmp_u_f32_e64 s[70:71], v139, v139                       // 000000007500: D0480046 0003178B
	v_bfe_u32 v40, v139, 16, 1                                 // 000000007508: D1C80028 0205218B
	v_add3_u32 v40, v139, v40, v43                             // 000000007510: D1FF0028 04AE518B
	v_cndmask_b32_e64 v17, v40, v42, s[70:71]                  // 000000007518: D1000011 011A5528
	v_and_or_b32 v133, v17, v41, v16                           // 000000007520: D2010085 04425311
	v_cmp_u_f32_e64 s[70:71], v140, v140                       // 000000007528: D0480046 0003198C
	v_bfe_u32 v40, v140, 16, 1                                 // 000000007530: D1C80028 0205218C
	v_add3_u32 v40, v140, v40, v43                             // 000000007538: D1FF0028 04AE518C
	v_cndmask_b32_e64 v16, v40, v42, s[70:71]                  // 000000007540: D1000010 011A5528
	v_lshrrev_b32_e32 v16, 16, v16                             // 000000007548: 20202090
	v_cmp_u_f32_e64 s[70:71], v141, v141                       // 00000000754C: D0480046 00031B8D
	v_bfe_u32 v40, v141, 16, 1                                 // 000000007554: D1C80028 0205218D
	v_add3_u32 v40, v141, v40, v43                             // 00000000755C: D1FF0028 04AE518D
	v_cndmask_b32_e64 v17, v40, v42, s[70:71]                  // 000000007564: D1000011 011A5528
	v_and_or_b32 v134, v17, v41, v16                           // 00000000756C: D2010086 04425311
	v_cmp_u_f32_e64 s[70:71], v142, v142                       // 000000007574: D0480046 00031D8E
	v_bfe_u32 v40, v142, 16, 1                                 // 00000000757C: D1C80028 0205218E
	v_add3_u32 v40, v142, v40, v43                             // 000000007584: D1FF0028 04AE518E
	v_cndmask_b32_e64 v16, v40, v42, s[70:71]                  // 00000000758C: D1000010 011A5528
	v_lshrrev_b32_e32 v16, 16, v16                             // 000000007594: 20202090
	v_cmp_u_f32_e64 s[70:71], v143, v143                       // 000000007598: D0480046 00031F8F
	v_bfe_u32 v40, v143, 16, 1                                 // 0000000075A0: D1C80028 0205218F
	v_add3_u32 v40, v143, v40, v43                             // 0000000075A8: D1FF0028 04AE518F
	v_cndmask_b32_e64 v17, v40, v42, s[70:71]                  // 0000000075B0: D1000011 011A5528
	v_and_or_b32 v135, v17, v41, v16                           // 0000000075B8: D2010087 04425311
	v_cmp_u_f32_e64 s[70:71], v144, v144                       // 0000000075C0: D0480046 00032190
	v_bfe_u32 v40, v144, 16, 1                                 // 0000000075C8: D1C80028 02052190
	v_add3_u32 v40, v144, v40, v43                             // 0000000075D0: D1FF0028 04AE5190
	v_cndmask_b32_e64 v16, v40, v42, s[70:71]                  // 0000000075D8: D1000010 011A5528
	v_lshrrev_b32_e32 v16, 16, v16                             // 0000000075E0: 20202090
	v_cmp_u_f32_e64 s[70:71], v145, v145                       // 0000000075E4: D0480046 00032391
	v_bfe_u32 v40, v145, 16, 1                                 // 0000000075EC: D1C80028 02052191
	v_add3_u32 v40, v145, v40, v43                             // 0000000075F4: D1FF0028 04AE5191
	v_cndmask_b32_e64 v17, v40, v42, s[70:71]                  // 0000000075FC: D1000011 011A5528
	v_and_or_b32 v136, v17, v41, v16                           // 000000007604: D2010088 04425311
	v_cmp_u_f32_e64 s[70:71], v146, v146                       // 00000000760C: D0480046 00032592
	v_bfe_u32 v40, v146, 16, 1                                 // 000000007614: D1C80028 02052192
	v_add3_u32 v40, v146, v40, v43                             // 00000000761C: D1FF0028 04AE5192
	v_cndmask_b32_e64 v16, v40, v42, s[70:71]                  // 000000007624: D1000010 011A5528
	v_lshrrev_b32_e32 v16, 16, v16                             // 00000000762C: 20202090
	v_cmp_u_f32_e64 s[70:71], v147, v147                       // 000000007630: D0480046 00032793
	v_bfe_u32 v40, v147, 16, 1                                 // 000000007638: D1C80028 02052193
	v_add3_u32 v40, v147, v40, v43                             // 000000007640: D1FF0028 04AE5193
	v_cndmask_b32_e64 v17, v40, v42, s[70:71]                  // 000000007648: D1000011 011A5528
	v_and_or_b32 v137, v17, v41, v16                           // 000000007650: D2010089 04425311
	v_cmp_u_f32_e64 s[70:71], v148, v148                       // 000000007658: D0480046 00032994
	v_bfe_u32 v40, v148, 16, 1                                 // 000000007660: D1C80028 02052194
	v_add3_u32 v40, v148, v40, v43                             // 000000007668: D1FF0028 04AE5194
	v_cndmask_b32_e64 v16, v40, v42, s[70:71]                  // 000000007670: D1000010 011A5528
	v_lshrrev_b32_e32 v16, 16, v16                             // 000000007678: 20202090
	v_cmp_u_f32_e64 s[70:71], v149, v149                       // 00000000767C: D0480046 00032B95
	v_bfe_u32 v40, v149, 16, 1                                 // 000000007684: D1C80028 02052195
	v_add3_u32 v40, v149, v40, v43                             // 00000000768C: D1FF0028 04AE5195
	v_cndmask_b32_e64 v17, v40, v42, s[70:71]                  // 000000007694: D1000011 011A5528
	v_and_or_b32 v138, v17, v41, v16                           // 00000000769C: D201008A 04425311
	v_cmp_u_f32_e64 s[70:71], v150, v150                       // 0000000076A4: D0480046 00032D96
	v_bfe_u32 v40, v150, 16, 1                                 // 0000000076AC: D1C80028 02052196
	v_add3_u32 v40, v150, v40, v43                             // 0000000076B4: D1FF0028 04AE5196
	v_cndmask_b32_e64 v16, v40, v42, s[70:71]                  // 0000000076BC: D1000010 011A5528
	v_lshrrev_b32_e32 v16, 16, v16                             // 0000000076C4: 20202090
	v_cmp_u_f32_e64 s[70:71], v151, v151                       // 0000000076C8: D0480046 00032F97
	v_bfe_u32 v40, v151, 16, 1                                 // 0000000076D0: D1C80028 02052197
	v_add3_u32 v40, v151, v40, v43                             // 0000000076D8: D1FF0028 04AE5197
	v_cndmask_b32_e64 v17, v40, v42, s[70:71]                  // 0000000076E0: D1000011 011A5528
	v_and_or_b32 v139, v17, v41, v16                           // 0000000076E8: D201008B 04425311
	v_cmp_u_f32_e64 s[70:71], v152, v152                       // 0000000076F0: D0480046 00033198
	v_bfe_u32 v40, v152, 16, 1                                 // 0000000076F8: D1C80028 02052198
	v_add3_u32 v40, v152, v40, v43                             // 000000007700: D1FF0028 04AE5198
	v_cndmask_b32_e64 v16, v40, v42, s[70:71]                  // 000000007708: D1000010 011A5528
	v_lshrrev_b32_e32 v16, 16, v16                             // 000000007710: 20202090
	v_cmp_u_f32_e64 s[70:71], v153, v153                       // 000000007714: D0480046 00033399
	v_bfe_u32 v40, v153, 16, 1                                 // 00000000771C: D1C80028 02052199
	v_add3_u32 v40, v153, v40, v43                             // 000000007724: D1FF0028 04AE5199
	v_cndmask_b32_e64 v17, v40, v42, s[70:71]                  // 00000000772C: D1000011 011A5528
	v_and_or_b32 v140, v17, v41, v16                           // 000000007734: D201008C 04425311
	v_cmp_u_f32_e64 s[70:71], v154, v154                       // 00000000773C: D0480046 0003359A
	v_bfe_u32 v40, v154, 16, 1                                 // 000000007744: D1C80028 0205219A
	v_add3_u32 v40, v154, v40, v43                             // 00000000774C: D1FF0028 04AE519A
	v_cndmask_b32_e64 v16, v40, v42, s[70:71]                  // 000000007754: D1000010 011A5528
	v_lshrrev_b32_e32 v16, 16, v16                             // 00000000775C: 20202090
	v_cmp_u_f32_e64 s[70:71], v155, v155                       // 000000007760: D0480046 0003379B
	v_bfe_u32 v40, v155, 16, 1                                 // 000000007768: D1C80028 0205219B
	v_add3_u32 v40, v155, v40, v43                             // 000000007770: D1FF0028 04AE519B
	v_cndmask_b32_e64 v17, v40, v42, s[70:71]                  // 000000007778: D1000011 011A5528
	v_and_or_b32 v141, v17, v41, v16                           // 000000007780: D201008D 04425311
	v_cmp_u_f32_e64 s[70:71], v156, v156                       // 000000007788: D0480046 0003399C
	v_bfe_u32 v40, v156, 16, 1                                 // 000000007790: D1C80028 0205219C
	v_add3_u32 v40, v156, v40, v43                             // 000000007798: D1FF0028 04AE519C
	v_cndmask_b32_e64 v16, v40, v42, s[70:71]                  // 0000000077A0: D1000010 011A5528
	v_lshrrev_b32_e32 v16, 16, v16                             // 0000000077A8: 20202090
	v_cmp_u_f32_e64 s[70:71], v157, v157                       // 0000000077AC: D0480046 00033B9D
	v_bfe_u32 v40, v157, 16, 1                                 // 0000000077B4: D1C80028 0205219D
	v_add3_u32 v40, v157, v40, v43                             // 0000000077BC: D1FF0028 04AE519D
	v_cndmask_b32_e64 v17, v40, v42, s[70:71]                  // 0000000077C4: D1000011 011A5528
	v_and_or_b32 v142, v17, v41, v16                           // 0000000077CC: D201008E 04425311
	v_cmp_u_f32_e64 s[70:71], v158, v158                       // 0000000077D4: D0480046 00033D9E
	v_bfe_u32 v40, v158, 16, 1                                 // 0000000077DC: D1C80028 0205219E
	v_add3_u32 v40, v158, v40, v43                             // 0000000077E4: D1FF0028 04AE519E
	v_cndmask_b32_e64 v16, v40, v42, s[70:71]                  // 0000000077EC: D1000010 011A5528
	v_lshrrev_b32_e32 v16, 16, v16                             // 0000000077F4: 20202090
	v_cmp_u_f32_e64 s[70:71], v159, v159                       // 0000000077F8: D0480046 00033F9F
	v_bfe_u32 v40, v159, 16, 1                                 // 000000007800: D1C80028 0205219F
	v_add3_u32 v40, v159, v40, v43                             // 000000007808: D1FF0028 04AE519F
	v_cndmask_b32_e64 v17, v40, v42, s[70:71]                  // 000000007810: D1000011 011A5528
	v_and_or_b32 v143, v17, v41, v16                           // 000000007818: D201008F 04425311
	ds_write_b64 v35, v[128:129]                               // 000000007820: D89A0000 00008023
	ds_write_b64 v35, v[130:131] offset:528                    // 000000007828: D89A0210 00008223
	ds_write_b64 v35, v[132:133] offset:1056                   // 000000007830: D89A0420 00008423
	ds_write_b64 v35, v[134:135] offset:1584                   // 000000007838: D89A0630 00008623
	ds_write_b64 v35, v[136:137] offset:2112                   // 000000007840: D89A0840 00008823
	ds_write_b64 v35, v[138:139] offset:2640                   // 000000007848: D89A0A50 00008A23
	ds_write_b64 v35, v[140:141] offset:3168                   // 000000007850: D89A0C60 00008C23
	ds_write_b64 v35, v[142:143] offset:3696                   // 000000007858: D89A0E70 00008E23
	s_waitcnt vmcnt(0) expcnt(0) lgkmcnt(0)                    // 000000007860: BF8C0000
	ds_read_b64 v[128:129], v34                                // 000000007864: D8EC0000 80000022
	ds_read_b64 v[130:131], v34 offset:264                     // 00000000786C: D8EC0108 82000022
	ds_read_b64 v[132:133], v34 offset:64                      // 000000007874: D8EC0040 84000022
	ds_read_b64 v[134:135], v34 offset:328                     // 00000000787C: D8EC0148 86000022
	ds_read_b64 v[136:137], v34 offset:128                     // 000000007884: D8EC0080 88000022
	ds_read_b64 v[138:139], v34 offset:392                     // 00000000788C: D8EC0188 8A000022
	ds_read_b64 v[140:141], v34 offset:192                     // 000000007894: D8EC00C0 8C000022
	ds_read_b64 v[142:143], v34 offset:456                     // 00000000789C: D8EC01C8 8E000022
	s_waitcnt vmcnt(0) expcnt(0) lgkmcnt(0)                    // 0000000078A4: BF8C0000
	buffer_store_dwordx4 v[128:131], v8, s[20:23], 0 offen offset:128// 0000000078A8: E07C1080 80058008
	buffer_store_dwordx4 v[132:135], v9, s[20:23], 0 offen offset:128// 0000000078B0: E07C1080 80058409
	buffer_store_dwordx4 v[136:139], v10, s[20:23], 0 offen offset:128// 0000000078B8: E07C1080 8005880A
	buffer_store_dwordx4 v[140:143], v11, s[20:23], 0 offen offset:128// 0000000078C0: E07C1080 80058C0B
	s_cmp_eq_u32 s37, 0                                        // 0000000078C8: BF068025
	s_cbranch_scc1 label_117A                                  // 0000000078CC: BF850006
	v_cmp_ge_f32_e64 s[40:41], v2, v31                         // 0000000078D0: D0460028 00023F02
	v_cndmask_b32_e64 v2, v31, v2, s[40:41]                    // 0000000078D8: D1000002 00A2051F
	buffer_store_dword v2, v3, s[24:27], 0 offen               // 0000000078E0: E0701000 80060203

00000000000078e8 <label_117A>:
	s_waitcnt vmcnt(0) expcnt(0) lgkmcnt(0)                    // 0000000078E8: BF8C0000
	s_endpgm                                                   // 0000000078EC: BF810000
